;; amdgpu-corpus repo=ROCm/rocFFT kind=compiled arch=gfx1201 opt=O3
	.text
	.amdgcn_target "amdgcn-amd-amdhsa--gfx1201"
	.amdhsa_code_object_version 6
	.protected	fft_rtc_back_len208_factors_2_2_4_13_wgs_247_tpt_13_dim3_sp_ip_CI_sbcc_twdbase8_3step_dirReg ; -- Begin function fft_rtc_back_len208_factors_2_2_4_13_wgs_247_tpt_13_dim3_sp_ip_CI_sbcc_twdbase8_3step_dirReg
	.globl	fft_rtc_back_len208_factors_2_2_4_13_wgs_247_tpt_13_dim3_sp_ip_CI_sbcc_twdbase8_3step_dirReg
	.p2align	8
	.type	fft_rtc_back_len208_factors_2_2_4_13_wgs_247_tpt_13_dim3_sp_ip_CI_sbcc_twdbase8_3step_dirReg,@function
fft_rtc_back_len208_factors_2_2_4_13_wgs_247_tpt_13_dim3_sp_ip_CI_sbcc_twdbase8_3step_dirReg: ; @fft_rtc_back_len208_factors_2_2_4_13_wgs_247_tpt_13_dim3_sp_ip_CI_sbcc_twdbase8_3step_dirReg
; %bb.0:
	s_load_b128 s[8:11], s[0:1], 0x10
	s_mov_b32 s3, 0
	s_mov_b32 s4, 0x50d6f500
	;; [unrolled: 1-line block ×4, first 2 shown]
	s_movk_i32 s6, 0xffed
	s_add_nc_u64 s[4:5], s[2:3], s[4:5]
	s_mov_b32 s7, -1
	s_add_co_i32 s5, s5, 0xd794330
	s_delay_alu instid0(SALU_CYCLE_1) | instskip(NEXT) | instid1(SALU_CYCLE_1)
	s_mul_u64 s[6:7], s[4:5], s[6:7]
	s_mul_hi_u32 s15, s4, s7
	s_mul_i32 s14, s4, s7
	s_mul_hi_u32 s2, s4, s6
	s_mul_i32 s17, s5, s6
	s_add_nc_u64 s[14:15], s[2:3], s[14:15]
	s_mul_hi_u32 s16, s5, s6
	s_mul_hi_u32 s18, s5, s7
	s_add_co_u32 s2, s14, s17
	s_wait_kmcnt 0x0
	s_load_b64 s[12:13], s[8:9], 0x8
	s_add_co_ci_u32 s2, s15, s16
	s_mul_i32 s6, s5, s7
	s_add_co_ci_u32 s7, s18, 0
	s_delay_alu instid0(SALU_CYCLE_1) | instskip(NEXT) | instid1(SALU_CYCLE_1)
	s_add_nc_u64 s[6:7], s[2:3], s[6:7]
	v_add_co_u32 v1, s2, s4, s6
	s_delay_alu instid0(VALU_DEP_1) | instskip(SKIP_1) | instid1(VALU_DEP_1)
	s_cmp_lg_u32 s2, 0
	s_add_co_ci_u32 s14, s5, s7
	v_readfirstlane_b32 s15, v1
	s_wait_kmcnt 0x0
	s_add_nc_u64 s[4:5], s[12:13], -1
	s_wait_alu 0xfffe
	s_mul_hi_u32 s7, s4, s14
	s_mul_i32 s6, s4, s14
	s_mul_hi_u32 s2, s4, s15
	s_mul_hi_u32 s17, s5, s15
	s_mul_i32 s15, s5, s15
	s_wait_alu 0xfffe
	s_add_nc_u64 s[6:7], s[2:3], s[6:7]
	s_mul_hi_u32 s16, s5, s14
	s_wait_alu 0xfffe
	s_add_co_u32 s2, s6, s15
	s_add_co_ci_u32 s2, s7, s17
	s_mul_i32 s14, s5, s14
	s_add_co_ci_u32 s15, s16, 0
	s_delay_alu instid0(SALU_CYCLE_1) | instskip(SKIP_2) | instid1(SALU_CYCLE_1)
	s_add_nc_u64 s[6:7], s[2:3], s[14:15]
	s_wait_alu 0xfffe
	s_mul_u64 s[14:15], s[6:7], 19
	v_sub_co_u32 v1, s2, s4, s14
	s_delay_alu instid0(VALU_DEP_1) | instskip(SKIP_1) | instid1(VALU_DEP_1)
	s_cmp_lg_u32 s2, 0
	s_sub_co_ci_u32 s16, s5, s15
	v_sub_co_u32 v2, s4, v1, 19
	s_delay_alu instid0(VALU_DEP_1) | instskip(SKIP_2) | instid1(VALU_DEP_2)
	s_cmp_lg_u32 s4, 0
	v_readfirstlane_b32 s17, v1
	s_sub_co_ci_u32 s14, s16, 0
	v_readfirstlane_b32 s2, v2
	s_add_nc_u64 s[4:5], s[6:7], 1
	s_delay_alu instid0(VALU_DEP_1)
	s_cmp_gt_u32 s2, 18
	s_cselect_b32 s2, -1, 0
	s_wait_alu 0xfffe
	s_cmp_eq_u32 s14, 0
	s_add_nc_u64 s[14:15], s[6:7], 2
	s_cselect_b32 s2, s2, -1
	s_delay_alu instid0(SALU_CYCLE_1)
	s_cmp_lg_u32 s2, 0
	s_wait_alu 0xfffe
	s_cselect_b32 s2, s14, s4
	s_cselect_b32 s4, s15, s5
	s_cmp_gt_u32 s17, 18
	s_cselect_b32 s5, -1, 0
	s_cmp_eq_u32 s16, 0
	s_mov_b64 s[16:17], 0
	s_wait_alu 0xfffe
	s_cselect_b32 s5, s5, -1
	s_wait_alu 0xfffe
	s_cmp_lg_u32 s5, 0
	s_cselect_b32 s5, s4, s7
	s_cselect_b32 s4, s2, s6
	s_mov_b32 s2, ttmp9
	s_wait_alu 0xfffe
	s_add_nc_u64 s[14:15], s[4:5], 1
	s_wait_alu 0xfffe
	v_cmp_lt_u64_e64 s4, s[2:3], s[14:15]
	s_delay_alu instid0(VALU_DEP_1)
	s_and_b32 vcc_lo, exec_lo, s4
	s_cbranch_vccnz .LBB0_2
; %bb.1:
	v_cvt_f32_u32_e32 v1, s14
	s_sub_co_i32 s5, 0, s14
	s_mov_b32 s17, s3
	s_delay_alu instid0(VALU_DEP_1) | instskip(NEXT) | instid1(TRANS32_DEP_1)
	v_rcp_iflag_f32_e32 v1, v1
	v_mul_f32_e32 v1, 0x4f7ffffe, v1
	s_delay_alu instid0(VALU_DEP_1) | instskip(NEXT) | instid1(VALU_DEP_1)
	v_cvt_u32_f32_e32 v1, v1
	v_readfirstlane_b32 s4, v1
	s_wait_alu 0xfffe
	s_delay_alu instid0(VALU_DEP_1)
	s_mul_i32 s5, s5, s4
	s_wait_alu 0xfffe
	s_mul_hi_u32 s5, s4, s5
	s_wait_alu 0xfffe
	s_add_co_i32 s4, s4, s5
	s_wait_alu 0xfffe
	s_mul_hi_u32 s4, s2, s4
	s_wait_alu 0xfffe
	s_mul_i32 s5, s4, s14
	s_add_co_i32 s6, s4, 1
	s_wait_alu 0xfffe
	s_sub_co_i32 s5, s2, s5
	s_wait_alu 0xfffe
	s_sub_co_i32 s7, s5, s14
	s_cmp_ge_u32 s5, s14
	s_cselect_b32 s4, s6, s4
	s_wait_alu 0xfffe
	s_cselect_b32 s5, s7, s5
	s_add_co_i32 s6, s4, 1
	s_wait_alu 0xfffe
	s_cmp_ge_u32 s5, s14
	s_cselect_b32 s16, s6, s4
.LBB0_2:
	s_load_b64 s[8:9], s[8:9], 0x10
	s_mov_b64 s[18:19], s[16:17]
	s_wait_kmcnt 0x0
	v_cmp_lt_u64_e64 s4, s[16:17], s[8:9]
	s_delay_alu instid0(VALU_DEP_1)
	s_and_b32 vcc_lo, exec_lo, s4
	s_cbranch_vccnz .LBB0_4
; %bb.3:
	v_cvt_f32_u32_e32 v1, s8
	s_sub_co_i32 s5, 0, s8
	s_mov_b32 s19, 0
	s_delay_alu instid0(VALU_DEP_1) | instskip(NEXT) | instid1(TRANS32_DEP_1)
	v_rcp_iflag_f32_e32 v1, v1
	v_mul_f32_e32 v1, 0x4f7ffffe, v1
	s_delay_alu instid0(VALU_DEP_1) | instskip(NEXT) | instid1(VALU_DEP_1)
	v_cvt_u32_f32_e32 v1, v1
	v_readfirstlane_b32 s4, v1
	s_wait_alu 0xfffe
	s_delay_alu instid0(VALU_DEP_1)
	s_mul_i32 s5, s5, s4
	s_wait_alu 0xfffe
	s_mul_hi_u32 s5, s4, s5
	s_wait_alu 0xfffe
	s_add_co_i32 s4, s4, s5
	s_wait_alu 0xfffe
	s_mul_hi_u32 s4, s16, s4
	s_wait_alu 0xfffe
	s_mul_i32 s4, s4, s8
	s_wait_alu 0xfffe
	s_sub_co_i32 s4, s16, s4
	s_wait_alu 0xfffe
	s_sub_co_i32 s5, s4, s8
	s_cmp_ge_u32 s4, s8
	s_wait_alu 0xfffe
	s_cselect_b32 s4, s5, s4
	s_wait_alu 0xfffe
	s_sub_co_i32 s5, s4, s8
	s_cmp_ge_u32 s4, s8
	s_wait_alu 0xfffe
	s_cselect_b32 s18, s5, s4
.LBB0_4:
	s_clause 0x1
	s_load_b128 s[4:7], s[10:11], 0x0
	s_load_b64 s[20:21], s[10:11], 0x10
	s_mul_u64 s[8:9], s[8:9], s[14:15]
	s_mov_b64 s[22:23], 0
	s_wait_alu 0xfffe
	v_cmp_lt_u64_e64 s9, s[2:3], s[8:9]
	s_delay_alu instid0(VALU_DEP_1)
	s_and_b32 vcc_lo, exec_lo, s9
	s_cbranch_vccnz .LBB0_6
; %bb.5:
	v_cvt_f32_u32_e32 v1, s8
	s_sub_co_i32 s22, 0, s8
	s_delay_alu instid0(VALU_DEP_1) | instskip(NEXT) | instid1(TRANS32_DEP_1)
	v_rcp_iflag_f32_e32 v1, v1
	v_mul_f32_e32 v1, 0x4f7ffffe, v1
	s_delay_alu instid0(VALU_DEP_1) | instskip(NEXT) | instid1(VALU_DEP_1)
	v_cvt_u32_f32_e32 v1, v1
	v_readfirstlane_b32 s9, v1
	s_delay_alu instid0(VALU_DEP_1) | instskip(NEXT) | instid1(SALU_CYCLE_1)
	s_mul_i32 s22, s22, s9
	s_mul_hi_u32 s22, s9, s22
	s_delay_alu instid0(SALU_CYCLE_1)
	s_add_co_i32 s9, s9, s22
	s_wait_alu 0xfffe
	s_mul_hi_u32 s9, s2, s9
	s_wait_alu 0xfffe
	s_mul_i32 s22, s9, s8
	s_add_co_i32 s23, s9, 1
	s_sub_co_i32 s22, s2, s22
	s_delay_alu instid0(SALU_CYCLE_1)
	s_sub_co_i32 s24, s22, s8
	s_cmp_ge_u32 s22, s8
	s_cselect_b32 s9, s23, s9
	s_cselect_b32 s22, s24, s22
	s_wait_alu 0xfffe
	s_add_co_i32 s24, s9, 1
	s_cmp_ge_u32 s22, s8
	s_mov_b32 s23, 0
	s_cselect_b32 s22, s24, s9
.LBB0_6:
	v_mul_u32_u24_e32 v1, 0xd7a, v0
	s_load_b64 s[10:11], s[10:11], 0x18
	s_mul_u64 s[8:9], s[16:17], s[14:15]
	s_wait_alu 0xfffe
	s_sub_nc_u64 s[2:3], s[2:3], s[8:9]
	v_lshrrev_b32_e32 v172, 16, v1
	s_clause 0x1
	s_load_b64 s[14:15], s[0:1], 0x0
	s_load_b64 s[8:9], s[0:1], 0x50
	s_mul_u64 s[16:17], s[2:3], 19
	s_wait_kmcnt 0x0
	s_mul_u64 s[2:3], s[20:21], s[18:19]
	s_wait_alu 0xfffe
	s_mul_u64 s[18:19], s[6:7], s[16:17]
	v_mul_lo_u16 v1, v172, 19
	s_add_nc_u64 s[20:21], s[16:17], 19
	s_add_nc_u64 s[18:19], s[2:3], s[18:19]
	v_cmp_gt_u64_e64 s2, s[20:21], s[12:13]
	v_cmp_le_u64_e64 s3, s[20:21], s[12:13]
	v_sub_nc_u16 v1, v0, v1
	v_add_nc_u32_e32 v37, 13, v172
	v_add_nc_u32_e32 v38, 26, v172
	;; [unrolled: 1-line block ×3, first 2 shown]
	s_and_b32 vcc_lo, exec_lo, s2
	v_and_b32_e32 v174, 0xffff, v1
	v_add_nc_u32_e32 v40, 52, v172
	v_add_nc_u32_e32 v41, 0x41, v172
	;; [unrolled: 1-line block ×4, first 2 shown]
	v_add_co_u32 v24, s2, s16, v174
	s_wait_alu 0xf1ff
	v_add_co_ci_u32_e64 v25, null, s17, 0, s2
	s_mul_u64 s[10:11], s[10:11], s[22:23]
	s_mov_b32 s2, 0
	s_add_nc_u64 s[10:11], s[10:11], s[18:19]
	s_cbranch_vccnz .LBB0_8
; %bb.7:
	v_mad_co_u64_u32 v[1:2], null, s6, v174, 0
	v_mad_co_u64_u32 v[3:4], null, s4, v172, 0
	v_add_nc_u32_e32 v11, 0x68, v172
	s_lshl_b64 s[16:17], s[10:11], 3
	v_add_nc_u32_e32 v47, 0x5b, v172
	s_wait_alu 0xfffe
	s_add_nc_u64 s[16:17], s[8:9], s[16:17]
	v_add_nc_u32_e32 v46, 0x4e, v172
	v_mad_co_u64_u32 v[5:6], null, s4, v11, 0
	v_mad_co_u64_u32 v[7:8], null, s7, v174, v[2:3]
	v_add_nc_u32_e32 v173, 13, v172
	v_mad_co_u64_u32 v[48:49], null, s4, v47, 0
	v_add_nc_u32_e32 v35, 0xb6, v172
	v_mad_co_u64_u32 v[8:9], null, s5, v172, v[4:5]
	v_mov_b32_e32 v4, v6
	v_dual_mov_b32 v2, v7 :: v_dual_add_nc_u32 v13, 0x75, v172
	v_mad_co_u64_u32 v[9:10], null, s4, v173, 0
	s_delay_alu instid0(VALU_DEP_3) | instskip(SKIP_1) | instid1(VALU_DEP_4)
	v_mad_co_u64_u32 v[6:7], null, s5, v11, v[4:5]
	v_mov_b32_e32 v4, v8
	v_lshlrev_b64_e32 v[1:2], 3, v[1:2]
	v_mad_co_u64_u32 v[7:8], null, s4, v13, 0
	v_add_nc_u32_e32 v23, 26, v172
	s_delay_alu instid0(VALU_DEP_4)
	v_lshlrev_b64_e32 v[3:4], 3, v[3:4]
	v_lshlrev_b64_e32 v[5:6], 3, v[5:6]
	s_wait_alu 0xfffe
	v_add_co_u32 v53, vcc_lo, s16, v1
	v_add_co_ci_u32_e32 v54, vcc_lo, s17, v2, vcc_lo
	v_mad_co_u64_u32 v[1:2], null, s5, v173, v[10:11]
	v_mov_b32_e32 v2, v8
	s_delay_alu instid0(VALU_DEP_4) | instskip(SKIP_3) | instid1(VALU_DEP_3)
	v_add_co_u32 v3, vcc_lo, v53, v3
	v_mad_co_u64_u32 v[11:12], null, s4, v23, 0
	s_wait_alu 0xfffd
	v_add_co_ci_u32_e32 v4, vcc_lo, v54, v4, vcc_lo
	v_mad_co_u64_u32 v[13:14], null, s5, v13, v[2:3]
	v_mov_b32_e32 v10, v1
	v_add_co_u32 v14, vcc_lo, v53, v5
	v_mov_b32_e32 v1, v12
	s_wait_alu 0xfffd
	v_add_co_ci_u32_e32 v15, vcc_lo, v54, v6, vcc_lo
	v_dual_mov_b32 v8, v13 :: v_dual_add_nc_u32 v13, 0x82, v172
	s_delay_alu instid0(VALU_DEP_3) | instskip(SKIP_2) | instid1(VALU_DEP_4)
	v_mad_co_u64_u32 v[1:2], null, s5, v23, v[1:2]
	v_lshlrev_b64_e32 v[5:6], 3, v[9:10]
	v_mad_co_u64_u32 v[33:34], null, s4, v35, 0
	v_mad_co_u64_u32 v[16:17], null, s4, v13, 0
	v_add_nc_u32_e32 v36, 39, v172
	v_mov_b32_e32 v12, v1
	v_add_co_u32 v9, vcc_lo, v53, v5
	s_wait_alu 0xfffd
	v_add_co_ci_u32_e32 v10, vcc_lo, v54, v6, vcc_lo
	v_mov_b32_e32 v1, v17
	v_mad_co_u64_u32 v[18:19], null, s4, v36, 0
	v_lshlrev_b64_e32 v[5:6], 3, v[7:8]
	v_add_nc_u32_e32 v52, 0xc3, v172
	s_delay_alu instid0(VALU_DEP_3) | instskip(NEXT) | instid1(VALU_DEP_3)
	v_mov_b32_e32 v2, v19
	v_add_co_u32 v20, vcc_lo, v53, v5
	s_wait_alu 0xfffd
	s_delay_alu instid0(VALU_DEP_4) | instskip(NEXT) | instid1(VALU_DEP_3)
	v_add_co_ci_u32_e32 v21, vcc_lo, v54, v6, vcc_lo
	v_mad_co_u64_u32 v[26:27], null, s5, v13, v[1:2]
	v_mad_co_u64_u32 v[27:28], null, s5, v36, v[2:3]
	v_add_nc_u32_e32 v22, 0x8f, v172
	s_clause 0x3
	global_load_b64 v[5:6], v[3:4], off
	global_load_b64 v[7:8], v[14:15], off
	;; [unrolled: 1-line block ×4, first 2 shown]
	v_mad_co_u64_u32 v[50:51], null, s4, v52, 0
	v_mov_b32_e32 v17, v26
	v_lshlrev_b64_e32 v[11:12], 3, v[11:12]
	v_mov_b32_e32 v19, v27
	v_mad_co_u64_u32 v[28:29], null, s4, v22, 0
	s_delay_alu instid0(VALU_DEP_3) | instskip(SKIP_1) | instid1(VALU_DEP_4)
	v_add_co_u32 v9, vcc_lo, v53, v11
	s_wait_alu 0xfffd
	v_add_co_ci_u32_e32 v10, vcc_lo, v54, v12, vcc_lo
	v_lshlrev_b64_e32 v[12:13], 3, v[16:17]
	s_delay_alu instid0(VALU_DEP_4) | instskip(NEXT) | instid1(VALU_DEP_1)
	v_mov_b32_e32 v11, v29
	v_mad_co_u64_u32 v[14:15], null, s5, v22, v[11:12]
	v_add_nc_u32_e32 v44, 52, v172
	v_lshlrev_b64_e32 v[15:16], 3, v[18:19]
	v_add_co_u32 v11, vcc_lo, v53, v12
	s_wait_alu 0xfffd
	v_add_co_ci_u32_e32 v12, vcc_lo, v54, v13, vcc_lo
	v_mov_b32_e32 v29, v14
	v_mad_co_u64_u32 v[17:18], null, s4, v44, 0
	v_add_co_u32 v19, vcc_lo, v53, v15
	s_delay_alu instid0(VALU_DEP_3) | instskip(SKIP_2) | instid1(VALU_DEP_4)
	v_lshlrev_b64_e32 v[14:15], 3, v[28:29]
	s_wait_alu 0xfffd
	v_add_co_ci_u32_e32 v20, vcc_lo, v54, v16, vcc_lo
	v_mov_b32_e32 v13, v18
	s_delay_alu instid0(VALU_DEP_1) | instskip(SKIP_4) | instid1(VALU_DEP_4)
	v_mad_co_u64_u32 v[26:27], null, s5, v44, v[13:14]
	v_add_nc_u32_e32 v31, 0x9c, v172
	v_add_co_u32 v27, vcc_lo, v53, v14
	s_wait_alu 0xfffd
	v_add_co_ci_u32_e32 v28, vcc_lo, v54, v15, vcc_lo
	v_mov_b32_e32 v18, v26
	v_mad_co_u64_u32 v[21:22], null, s4, v31, 0
	s_delay_alu instid0(VALU_DEP_2) | instskip(NEXT) | instid1(VALU_DEP_2)
	v_lshlrev_b64_e32 v[17:18], 3, v[17:18]
	v_mov_b32_e32 v13, v22
	s_delay_alu instid0(VALU_DEP_2) | instskip(SKIP_1) | instid1(VALU_DEP_3)
	v_add_co_u32 v17, vcc_lo, v53, v17
	s_wait_alu 0xfffd
	v_add_co_ci_u32_e32 v18, vcc_lo, v54, v18, vcc_lo
	s_delay_alu instid0(VALU_DEP_3)
	v_mad_co_u64_u32 v[31:32], null, s5, v31, v[13:14]
	v_add_nc_u32_e32 v45, 0x41, v172
	s_clause 0x3
	global_load_b64 v[13:14], v[9:10], off
	global_load_b64 v[15:16], v[11:12], off
	;; [unrolled: 1-line block ×4, first 2 shown]
	v_add_nc_u32_e32 v28, 0xa9, v172
	v_mov_b32_e32 v22, v31
	v_mad_co_u64_u32 v[29:30], null, s4, v45, 0
	s_delay_alu instid0(VALU_DEP_3) | instskip(SKIP_1) | instid1(VALU_DEP_3)
	v_mad_co_u64_u32 v[26:27], null, s4, v28, 0
	v_mad_co_u64_u32 v[31:32], null, s4, v46, 0
	v_mov_b32_e32 v19, v30
	s_delay_alu instid0(VALU_DEP_1) | instskip(SKIP_1) | instid1(VALU_DEP_2)
	v_mad_co_u64_u32 v[19:20], null, s5, v45, v[19:20]
	v_lshlrev_b64_e32 v[20:21], 3, v[21:22]
	v_dual_mov_b32 v30, v19 :: v_dual_mov_b32 v19, v27
	s_delay_alu instid0(VALU_DEP_1) | instskip(SKIP_2) | instid1(VALU_DEP_4)
	v_mad_co_u64_u32 v[27:28], null, s5, v28, v[19:20]
	v_add_co_u32 v19, vcc_lo, v53, v20
	s_wait_alu 0xfffd
	v_add_co_ci_u32_e32 v20, vcc_lo, v54, v21, vcc_lo
	v_mov_b32_e32 v21, v32
	v_lshlrev_b64_e32 v[28:29], 3, v[29:30]
	v_lshlrev_b64_e32 v[26:27], 3, v[26:27]
	s_delay_alu instid0(VALU_DEP_3) | instskip(SKIP_1) | instid1(VALU_DEP_4)
	v_mad_co_u64_u32 v[21:22], null, s5, v46, v[21:22]
	v_mov_b32_e32 v22, v34
	v_add_co_u32 v28, vcc_lo, v53, v28
	s_wait_alu 0xfffd
	v_add_co_ci_u32_e32 v29, vcc_lo, v54, v29, vcc_lo
	s_delay_alu instid0(VALU_DEP_3)
	v_mad_co_u64_u32 v[34:35], null, s5, v35, v[22:23]
	v_mov_b32_e32 v22, v49
	v_mov_b32_e32 v32, v21
	v_add_co_u32 v26, vcc_lo, v53, v26
	s_wait_alu 0xfffd
	v_add_co_ci_u32_e32 v27, vcc_lo, v54, v27, vcc_lo
	v_mad_co_u64_u32 v[21:22], null, s5, v47, v[22:23]
	v_mov_b32_e32 v22, v51
	v_lshlrev_b64_e32 v[30:31], 3, v[31:32]
	v_lshlrev_b64_e32 v[32:33], 3, v[33:34]
	s_delay_alu instid0(VALU_DEP_4) | instskip(NEXT) | instid1(VALU_DEP_4)
	v_mov_b32_e32 v49, v21
	v_mad_co_u64_u32 v[51:52], null, s5, v52, v[22:23]
	s_delay_alu instid0(VALU_DEP_4)
	v_add_co_u32 v30, vcc_lo, v53, v30
	s_wait_alu 0xfffd
	v_add_co_ci_u32_e32 v31, vcc_lo, v54, v31, vcc_lo
	v_lshlrev_b64_e32 v[21:22], 3, v[48:49]
	v_add_co_u32 v48, vcc_lo, v53, v32
	s_wait_alu 0xfffd
	v_add_co_ci_u32_e32 v49, vcc_lo, v54, v33, vcc_lo
	v_lshlrev_b64_e32 v[32:33], 3, v[50:51]
	s_delay_alu instid0(VALU_DEP_4) | instskip(SKIP_2) | instid1(VALU_DEP_3)
	v_add_co_u32 v50, vcc_lo, v53, v21
	s_wait_alu 0xfffd
	v_add_co_ci_u32_e32 v51, vcc_lo, v54, v22, vcc_lo
	v_add_co_u32 v52, vcc_lo, v53, v32
	s_wait_alu 0xfffd
	v_add_co_ci_u32_e32 v53, vcc_lo, v54, v33, vcc_lo
	s_clause 0x7
	global_load_b64 v[32:33], v[17:18], off
	global_load_b64 v[34:35], v[19:20], off
	;; [unrolled: 1-line block ×8, first 2 shown]
	s_and_not1_b32 vcc_lo, exec_lo, s2
	s_wait_alu 0xfffe
	s_cbranch_vccz .LBB0_9
	s_branch .LBB0_14
.LBB0_8:
                                        ; implicit-def: $vgpr9
                                        ; implicit-def: $vgpr21
                                        ; implicit-def: $vgpr19
                                        ; implicit-def: $vgpr17
                                        ; implicit-def: $vgpr30
                                        ; implicit-def: $vgpr26
                                        ; implicit-def: $vgpr28
                                        ; implicit-def: $vgpr34
                                        ; implicit-def: $vgpr32
                                        ; implicit-def: $vgpr11
                                        ; implicit-def: $vgpr15
                                        ; implicit-def: $vgpr13
                                        ; implicit-def: $vgpr3
                                        ; implicit-def: $vgpr1
                                        ; implicit-def: $vgpr7
                                        ; implicit-def: $vgpr5
                                        ; implicit-def: $vgpr173
                                        ; implicit-def: $vgpr23
                                        ; implicit-def: $vgpr36
                                        ; implicit-def: $vgpr44
                                        ; implicit-def: $vgpr45
                                        ; implicit-def: $vgpr46
                                        ; implicit-def: $vgpr47
.LBB0_9:
	s_mov_b32 s2, exec_lo
                                        ; implicit-def: $vgpr173
                                        ; implicit-def: $vgpr23
                                        ; implicit-def: $vgpr36
                                        ; implicit-def: $vgpr44
                                        ; implicit-def: $vgpr45
                                        ; implicit-def: $vgpr46
                                        ; implicit-def: $vgpr47
	v_cmpx_le_u64_e64 s[12:13], v[24:25]
	s_wait_alu 0xfffe
	s_xor_b32 s2, exec_lo, s2
; %bb.10:
	v_add_nc_u32_e32 v173, 13, v172
	v_add_nc_u32_e32 v23, 26, v172
	;; [unrolled: 1-line block ×7, first 2 shown]
                                        ; implicit-def: $vgpr37
                                        ; implicit-def: $vgpr38
                                        ; implicit-def: $vgpr39
                                        ; implicit-def: $vgpr40
                                        ; implicit-def: $vgpr41
                                        ; implicit-def: $vgpr42
                                        ; implicit-def: $vgpr43
; %bb.11:
	s_wait_alu 0xfffe
	s_or_saveexec_b32 s2, s2
                                        ; implicit-def: $vgpr9
                                        ; implicit-def: $vgpr21
                                        ; implicit-def: $vgpr19
                                        ; implicit-def: $vgpr17
                                        ; implicit-def: $vgpr30
                                        ; implicit-def: $vgpr26
                                        ; implicit-def: $vgpr28
                                        ; implicit-def: $vgpr34
                                        ; implicit-def: $vgpr32
                                        ; implicit-def: $vgpr11
                                        ; implicit-def: $vgpr15
                                        ; implicit-def: $vgpr13
                                        ; implicit-def: $vgpr3
                                        ; implicit-def: $vgpr1
                                        ; implicit-def: $vgpr7
                                        ; implicit-def: $vgpr5
	s_wait_alu 0xfffe
	s_xor_b32 exec_lo, exec_lo, s2
	s_cbranch_execz .LBB0_13
; %bb.12:
	s_wait_loadcnt 0xd
	v_mad_co_u64_u32 v[1:2], null, s6, v174, 0
	s_wait_loadcnt 0xc
	v_mad_co_u64_u32 v[3:4], null, s4, v172, 0
	v_mad_co_u64_u32 v[5:6], null, s4, v37, 0
	s_wait_loadcnt 0xb
	v_add_nc_u32_e32 v13, 0x68, v172
	v_add_nc_u32_e32 v14, 0x75, v172
	s_lshl_b64 s[16:17], s[10:11], 3
	s_wait_loadcnt 0x3
	v_mad_co_u64_u32 v[26:27], null, s4, v41, 0
	v_mad_co_u64_u32 v[9:10], null, s7, v174, v[2:3]
	v_mov_b32_e32 v2, v6
	v_mad_co_u64_u32 v[7:8], null, s4, v13, 0
	v_mad_co_u64_u32 v[10:11], null, s5, v172, v[4:5]
	s_delay_alu instid0(VALU_DEP_3) | instskip(SKIP_2) | instid1(VALU_DEP_4)
	v_mad_co_u64_u32 v[11:12], null, s5, v37, v[2:3]
	s_wait_loadcnt 0x1
	v_dual_mov_b32 v2, v9 :: v_dual_add_nc_u32 v17, 0x82, v172
	v_dual_mov_b32 v4, v8 :: v_dual_add_nc_u32 v21, 0x8f, v172
	s_wait_alu 0xfffe
	s_add_nc_u64 s[16:17], s[8:9], s[16:17]
	s_delay_alu instid0(VALU_DEP_2)
	v_lshlrev_b64_e32 v[1:2], 3, v[1:2]
	v_add_nc_u32_e32 v30, 0xa9, v172
	v_mad_co_u64_u32 v[8:9], null, s5, v13, v[4:5]
	v_mov_b32_e32 v4, v10
	v_mad_co_u64_u32 v[9:10], null, s4, v14, 0
	s_wait_alu 0xfffe
	v_add_co_u32 v48, vcc_lo, s16, v1
	s_delay_alu instid0(VALU_DEP_3)
	v_lshlrev_b64_e32 v[3:4], 3, v[3:4]
	s_wait_alu 0xfffd
	v_add_co_ci_u32_e32 v49, vcc_lo, s17, v2, vcc_lo
	s_wait_loadcnt 0x0
	v_mad_co_u64_u32 v[19:20], null, s4, v21, 0
	v_mov_b32_e32 v6, v11
	v_add_co_u32 v1, vcc_lo, v48, v3
	s_wait_alu 0xfffd
	v_add_co_ci_u32_e32 v2, vcc_lo, v49, v4, vcc_lo
	s_delay_alu instid0(VALU_DEP_3) | instskip(SKIP_4) | instid1(VALU_DEP_4)
	v_lshlrev_b64_e32 v[4:5], 3, v[5:6]
	v_mov_b32_e32 v3, v10
	v_lshlrev_b64_e32 v[7:8], 3, v[7:8]
	v_mad_co_u64_u32 v[33:34], null, s4, v43, 0
	v_mov_b32_e32 v173, v37
	v_mad_co_u64_u32 v[10:11], null, s5, v14, v[3:4]
	v_mad_co_u64_u32 v[11:12], null, s4, v38, 0
	;; [unrolled: 1-line block ×3, first 2 shown]
	v_add_co_u32 v7, vcc_lo, v48, v7
	s_wait_alu 0xfffd
	v_add_co_ci_u32_e32 v8, vcc_lo, v49, v8, vcc_lo
	s_delay_alu instid0(VALU_DEP_4)
	v_mov_b32_e32 v3, v12
	v_add_co_u32 v15, vcc_lo, v48, v4
	v_mov_b32_e32 v4, v14
	s_wait_alu 0xfffd
	v_add_co_ci_u32_e32 v16, vcc_lo, v49, v5, vcc_lo
	v_lshlrev_b64_e32 v[5:6], 3, v[9:10]
	v_add_nc_u32_e32 v23, 0x9c, v172
	v_mad_co_u64_u32 v[9:10], null, s5, v38, v[3:4]
	v_add_nc_u32_e32 v35, 0xb6, v172
	s_delay_alu instid0(VALU_DEP_4) | instskip(SKIP_1) | instid1(VALU_DEP_4)
	v_mad_co_u64_u32 v[3:4], null, s5, v17, v[4:5]
	v_add_co_u32 v17, vcc_lo, v48, v5
	v_mov_b32_e32 v12, v9
	v_mad_co_u64_u32 v[9:10], null, s4, v39, 0
	s_wait_alu 0xfffd
	v_add_co_ci_u32_e32 v18, vcc_lo, v49, v6, vcc_lo
	s_delay_alu instid0(VALU_DEP_3)
	v_lshlrev_b64_e32 v[11:12], 3, v[11:12]
	v_mov_b32_e32 v14, v3
	s_clause 0x3
	global_load_b64 v[5:6], v[1:2], off
	global_load_b64 v[7:8], v[7:8], off
	;; [unrolled: 1-line block ×4, first 2 shown]
	v_mov_b32_e32 v15, v20
	v_mad_co_u64_u32 v[16:17], null, s5, v39, v[10:11]
	v_lshlrev_b64_e32 v[13:14], 3, v[13:14]
	v_add_co_u32 v11, vcc_lo, v48, v11
	s_wait_alu 0xfffd
	v_add_co_ci_u32_e32 v12, vcc_lo, v49, v12, vcc_lo
	s_delay_alu instid0(VALU_DEP_4)
	v_mad_co_u64_u32 v[17:18], null, s5, v21, v[15:16]
	v_mad_co_u64_u32 v[21:22], null, s4, v40, 0
	v_mov_b32_e32 v10, v16
	v_add_co_u32 v15, vcc_lo, v48, v13
	s_wait_alu 0xfffd
	v_add_co_ci_u32_e32 v16, vcc_lo, v49, v14, vcc_lo
	s_delay_alu instid0(VALU_DEP_4) | instskip(SKIP_1) | instid1(VALU_DEP_2)
	v_dual_mov_b32 v20, v17 :: v_dual_mov_b32 v13, v22
	v_lshlrev_b64_e32 v[9:10], 3, v[9:10]
	v_lshlrev_b64_e32 v[17:18], 3, v[19:20]
	s_delay_alu instid0(VALU_DEP_3) | instskip(SKIP_1) | instid1(VALU_DEP_4)
	v_mad_co_u64_u32 v[13:14], null, s5, v40, v[13:14]
	v_mad_co_u64_u32 v[19:20], null, s4, v23, 0
	v_add_co_u32 v9, vcc_lo, v48, v9
	s_wait_alu 0xfffd
	v_add_co_ci_u32_e32 v10, vcc_lo, v49, v10, vcc_lo
	s_delay_alu instid0(VALU_DEP_4) | instskip(SKIP_4) | instid1(VALU_DEP_2)
	v_mov_b32_e32 v22, v13
	v_add_co_u32 v17, vcc_lo, v48, v17
	v_mov_b32_e32 v14, v20
	s_wait_alu 0xfffd
	v_add_co_ci_u32_e32 v18, vcc_lo, v49, v18, vcc_lo
	v_mad_co_u64_u32 v[28:29], null, s5, v23, v[14:15]
	s_clause 0x3
	global_load_b64 v[13:14], v[11:12], off
	global_load_b64 v[15:16], v[15:16], off
	global_load_b64 v[11:12], v[9:10], off
	global_load_b64 v[9:10], v[17:18], off
	v_lshlrev_b64_e32 v[17:18], 3, v[21:22]
	v_mad_co_u64_u32 v[22:23], null, s4, v30, 0
	v_dual_mov_b32 v21, v27 :: v_dual_mov_b32 v20, v28
	s_delay_alu instid0(VALU_DEP_3) | instskip(SKIP_1) | instid1(VALU_DEP_4)
	v_add_co_u32 v17, vcc_lo, v48, v17
	s_wait_alu 0xfffd
	v_add_co_ci_u32_e32 v18, vcc_lo, v49, v18, vcc_lo
	s_delay_alu instid0(VALU_DEP_3) | instskip(SKIP_2) | instid1(VALU_DEP_2)
	v_mad_co_u64_u32 v[27:28], null, s5, v41, v[21:22]
	v_mov_b32_e32 v21, v23
	v_mad_co_u64_u32 v[28:29], null, s4, v42, 0
	v_mad_co_u64_u32 v[30:31], null, s5, v30, v[21:22]
	;; [unrolled: 1-line block ×3, first 2 shown]
	s_delay_alu instid0(VALU_DEP_3) | instskip(SKIP_1) | instid1(VALU_DEP_4)
	v_mov_b32_e32 v21, v29
	v_lshlrev_b64_e32 v[26:27], 3, v[26:27]
	v_mov_b32_e32 v23, v30
	s_delay_alu instid0(VALU_DEP_3) | instskip(SKIP_1) | instid1(VALU_DEP_1)
	v_mad_co_u64_u32 v[29:30], null, s5, v42, v[21:22]
	v_dual_mov_b32 v21, v32 :: v_dual_add_nc_u32 v30, 0xc3, v172
	v_mad_co_u64_u32 v[35:36], null, s5, v35, v[21:22]
	v_mov_b32_e32 v21, v34
	v_lshlrev_b64_e32 v[19:20], 3, v[19:20]
	s_delay_alu instid0(VALU_DEP_4)
	v_mad_co_u64_u32 v[44:45], null, s4, v30, 0
	v_lshlrev_b64_e32 v[22:23], 3, v[22:23]
	v_lshlrev_b64_e32 v[28:29], 3, v[28:29]
	v_mov_b32_e32 v32, v35
	v_add_co_u32 v19, vcc_lo, v48, v19
	s_wait_alu 0xfffd
	v_add_co_ci_u32_e32 v20, vcc_lo, v49, v20, vcc_lo
	v_add_co_u32 v26, vcc_lo, v48, v26
	s_wait_alu 0xfffd
	v_add_co_ci_u32_e32 v27, vcc_lo, v49, v27, vcc_lo
	v_mad_co_u64_u32 v[34:35], null, s5, v43, v[21:22]
	v_mov_b32_e32 v21, v45
	v_add_co_u32 v22, vcc_lo, v48, v22
	s_wait_alu 0xfffd
	v_add_co_ci_u32_e32 v23, vcc_lo, v49, v23, vcc_lo
	v_add_co_u32 v46, vcc_lo, v48, v28
	s_delay_alu instid0(VALU_DEP_3) | instskip(SKIP_3) | instid1(VALU_DEP_3)
	v_mad_co_u64_u32 v[35:36], null, s5, v30, v[21:22]
	s_wait_alu 0xfffd
	v_add_co_ci_u32_e32 v47, vcc_lo, v49, v29, vcc_lo
	v_lshlrev_b64_e32 v[28:29], 3, v[33:34]
	v_dual_mov_b32 v36, v39 :: v_dual_mov_b32 v45, v35
	v_lshlrev_b64_e32 v[30:31], 3, v[31:32]
	s_delay_alu instid0(VALU_DEP_2) | instskip(NEXT) | instid1(VALU_DEP_2)
	v_lshlrev_b64_e32 v[32:33], 3, v[44:45]
	v_add_co_u32 v30, vcc_lo, v48, v30
	s_wait_alu 0xfffd
	s_delay_alu instid0(VALU_DEP_3)
	v_add_co_ci_u32_e32 v31, vcc_lo, v49, v31, vcc_lo
	v_add_co_u32 v44, vcc_lo, v48, v28
	s_wait_alu 0xfffd
	v_add_co_ci_u32_e32 v45, vcc_lo, v49, v29, vcc_lo
	v_add_co_u32 v48, vcc_lo, v48, v32
	s_wait_alu 0xfffd
	v_add_co_ci_u32_e32 v49, vcc_lo, v49, v33, vcc_lo
	s_clause 0x7
	global_load_b64 v[32:33], v[17:18], off
	global_load_b64 v[34:35], v[19:20], off
	;; [unrolled: 1-line block ×8, first 2 shown]
	v_dual_mov_b32 v23, v38 :: v_dual_mov_b32 v44, v40
	v_dual_mov_b32 v45, v41 :: v_dual_mov_b32 v46, v42
	v_mov_b32_e32 v47, v43
.LBB0_13:
	s_or_b32 exec_lo, exec_lo, s2
.LBB0_14:
	s_wait_loadcnt 0xc
	v_dual_sub_f32 v3, v1, v3 :: v_dual_sub_f32 v4, v2, v4
	v_dual_sub_f32 v7, v5, v7 :: v_dual_sub_f32 v8, v6, v8
	v_mul_i32_i24_e32 v39, 0x130, v173
	s_delay_alu instid0(VALU_DEP_3) | instskip(NEXT) | instid1(VALU_DEP_4)
	v_fma_f32 v37, v1, 2.0, -v3
	v_fma_f32 v38, v2, 2.0, -v4
	v_mul_u32_u24_e32 v2, 0x130, v172
	s_wait_loadcnt 0x0
	v_dual_sub_f32 v20, v18, v20 :: v_dual_lshlrev_b32 v1, 3, v174
	v_dual_sub_f32 v15, v13, v15 :: v_dual_sub_f32 v16, v14, v16
	v_mul_i32_i24_e32 v40, 0x130, v23
	v_fma_f32 v5, v5, 2.0, -v7
	v_fma_f32 v6, v6, 2.0, -v8
	v_add3_u32 v2, 0, v2, v1
	v_add3_u32 v39, 0, v39, v1
	v_fma_f32 v13, v13, 2.0, -v15
	v_fma_f32 v14, v14, 2.0, -v16
	v_add3_u32 v40, 0, v40, v1
	v_dual_sub_f32 v9, v11, v9 :: v_dual_sub_f32 v10, v12, v10
	ds_store_2addr_b64 v2, v[5:6], v[7:8] offset1:19
	ds_store_2addr_b64 v39, v[37:38], v[3:4] offset1:19
	;; [unrolled: 1-line block ×3, first 2 shown]
	v_mul_i32_i24_e32 v2, 0x130, v36
	v_dual_sub_f32 v34, v32, v34 :: v_dual_sub_f32 v35, v33, v35
	v_mul_i32_i24_e32 v3, 0x130, v44
	v_dual_sub_f32 v21, v28, v21 :: v_dual_sub_f32 v22, v29, v22
	;; [unrolled: 2-line block ×3, first 2 shown]
	v_mul_i32_i24_e32 v5, 0x130, v46
	v_sub_f32_e32 v19, v17, v19
	v_mul_i32_i24_e32 v6, 0x130, v47
	v_fma_f32 v11, v11, 2.0, -v9
	v_fma_f32 v12, v12, 2.0, -v10
	v_add3_u32 v2, 0, v2, v1
	v_fma_f32 v32, v32, 2.0, -v34
	v_fma_f32 v33, v33, 2.0, -v35
	v_add3_u32 v3, 0, v3, v1
	;; [unrolled: 3-line block ×5, first 2 shown]
	ds_store_2addr_b64 v2, v[11:12], v[9:10] offset1:19
	ds_store_2addr_b64 v3, v[32:33], v[34:35] offset1:19
	;; [unrolled: 1-line block ×5, first 2 shown]
	v_and_b32_e32 v4, 1, v172
	v_and_b32_e32 v5, 1, v173
	global_wb scope:SCOPE_SE
	s_wait_dscnt 0x0
	s_barrier_signal -1
	s_barrier_wait -1
	v_lshlrev_b32_e32 v2, 3, v4
	global_inv scope:SCOPE_SE
	v_and_b32_e32 v7, 1, v45
	v_mul_i32_i24_e32 v9, 0x98, v23
	v_mul_i32_i24_e32 v10, 0x98, v36
	global_load_b64 v[16:17], v2, s[14:15]
	v_lshlrev_b32_e32 v3, 3, v5
	v_mul_i32_i24_e32 v11, 0x98, v44
	v_mul_i32_i24_e32 v12, 0x98, v45
	;; [unrolled: 1-line block ×4, first 2 shown]
	global_load_b64 v[18:19], v3, s[14:15]
	v_and_b32_e32 v6, 1, v36
	v_and_b32_e32 v8, 1, v47
	v_lshlrev_b32_e32 v3, 3, v7
	v_lshlrev_b32_e32 v30, 1, v23
	v_lshlrev_b32_e32 v31, 1, v36
	v_lshlrev_b32_e32 v2, 3, v6
	v_add3_u32 v54, 0, v9, v1
	v_lshlrev_b32_e32 v34, 1, v46
	v_lshlrev_b32_e32 v35, 1, v47
	v_add3_u32 v56, 0, v10, v1
	global_load_b64 v[20:21], v2, s[14:15]
	v_lshlrev_b32_e32 v2, 3, v8
	s_clause 0x1
	global_load_b64 v[26:27], v3, s[14:15]
	global_load_b64 v[28:29], v2, s[14:15]
	v_mul_u32_u24_e32 v2, 0x98, v172
	v_lshlrev_b32_e32 v15, 1, v172
	v_lshlrev_b32_e32 v32, 1, v44
	;; [unrolled: 1-line block ×3, first 2 shown]
	v_mul_i32_i24_e32 v3, 0x98, v173
	v_add3_u32 v2, 0, v2, v1
	v_lshlrev_b32_e32 v22, 1, v173
	v_add3_u32 v53, 0, v11, v1
	v_add3_u32 v9, 0, v12, v1
	;; [unrolled: 1-line block ×4, first 2 shown]
	v_and_or_b32 v12, v15, 28, v4
	v_and_or_b32 v13, 0x3ffc, v30, v4
	;; [unrolled: 1-line block ×5, first 2 shown]
	ds_load_b64 v[30:31], v2
	ds_load_b64 v[32:33], v54
	v_and_b32_e32 v37, 3, v172
	v_add3_u32 v3, 0, v3, v1
	v_and_or_b32 v5, 0x3ffc, v22, v5
	v_and_or_b32 v22, 0x3ffc, v34, v4
	v_and_or_b32 v8, 0x3ffc, v35, v8
	v_mul_u32_u24_e32 v49, 3, v37
	ds_load_b64 v[34:35], v56
	ds_load_b64 v[37:38], v53
	ds_load_b64 v[39:40], v9
	ds_load_b64 v[41:42], v10
	ds_load_b64 v[43:44], v11
	ds_load_b64 v[45:46], v3
	ds_load_b64 v[47:48], v2 offset:29640
	v_add_nc_u32_e32 v4, 0x3d80, v2
	v_mul_u32_u24_e32 v60, 0x98, v5
	v_mul_u32_u24_e32 v62, 0x98, v6
	;; [unrolled: 1-line block ×8, first 2 shown]
	v_cmp_gt_u32_e64 s2, 57, v0
	s_mov_b32 s16, 0
	s_delay_alu instid0(VALU_DEP_2)
	v_add3_u32 v22, 0, v22, v1
	s_wait_loadcnt_dscnt 0x0
	v_mul_f32_e32 v76, v48, v29
	v_mul_f32_e32 v29, v47, v29
	ds_load_2addr_b64 v[4:7], v4 offset0:8 offset1:255
	v_add_nc_u32_e32 v50, 0x4d00, v2
	v_dual_fmac_f32 v76, v47, v28 :: v_dual_and_b32 v51, 3, v173
	ds_load_2addr_b64 v[8:11], v50 offset0:6 offset1:253
	v_mul_u32_u24_e32 v55, 3, v51
	s_wait_dscnt 0x1
	v_mul_f32_e32 v68, v19, v7
	v_mul_f32_e32 v19, v19, v6
	s_delay_alu instid0(VALU_DEP_2)
	v_dual_mul_f32 v67, v17, v4 :: v_dual_fmac_f32 v68, v18, v6
	v_add_nc_u32_e32 v57, 0x5c00, v2
	s_wait_dscnt 0x0
	v_dual_mul_f32 v69, v17, v9 :: v_dual_add_nc_u32 v58, 0x6440, v2
	v_dual_mul_f32 v71, v21, v11 :: v_dual_lshlrev_b32 v66, 3, v49
	v_sub_f32_e32 v6, v45, v68
	s_delay_alu instid0(VALU_DEP_3)
	v_fmac_f32_e32 v69, v16, v8
	ds_load_2addr_b32 v[49:50], v57 offset0:40 offset1:41
	ds_load_2addr_b64 v[12:15], v58 offset0:3 offset1:250
	v_fmac_f32_e32 v71, v20, v10
	v_add3_u32 v57, 0, v59, v1
	v_add3_u32 v59, 0, v60, v1
	;; [unrolled: 1-line block ×7, first 2 shown]
	v_mul_f32_e32 v65, v17, v5
	v_mul_f32_e32 v70, v17, v8
	v_dual_mul_f32 v21, v21, v10 :: v_dual_and_b32 v52, 3, v23
	v_fma_f32 v5, v16, v5, -v67
	s_delay_alu instid0(VALU_DEP_4)
	v_fmac_f32_e32 v65, v16, v4
	v_fma_f32 v7, v18, v7, -v19
	v_fma_f32 v9, v16, v9, -v70
	;; [unrolled: 1-line block ×4, first 2 shown]
	s_wait_dscnt 0x1
	v_mul_f32_e32 v72, v50, v17
	v_mul_f32_e32 v73, v17, v49
	s_wait_dscnt 0x0
	v_mul_f32_e32 v74, v13, v27
	v_mul_f32_e32 v27, v12, v27
	;; [unrolled: 1-line block ×4, first 2 shown]
	v_fmac_f32_e32 v72, v16, v49
	v_fma_f32 v18, v50, v16, -v73
	v_fmac_f32_e32 v74, v12, v26
	v_fma_f32 v19, v13, v26, -v27
	v_dual_fmac_f32 v75, v14, v16 :: v_dual_sub_f32 v8, v32, v69
	v_fma_f32 v17, v15, v16, -v17
	v_sub_f32_e32 v4, v30, v65
	v_dual_sub_f32 v5, v31, v5 :: v_dual_sub_f32 v10, v34, v71
	v_dual_sub_f32 v7, v46, v7 :: v_dual_sub_f32 v12, v37, v72
	;; [unrolled: 1-line block ×3, first 2 shown]
	v_sub_f32_e32 v11, v35, v11
	v_dual_sub_f32 v13, v38, v18 :: v_dual_sub_f32 v16, v41, v75
	v_dual_sub_f32 v15, v40, v19 :: v_dual_sub_f32 v18, v43, v76
	v_sub_f32_e32 v17, v42, v17
	v_sub_f32_e32 v19, v44, v20
	v_fma_f32 v20, v30, 2.0, -v4
	v_fma_f32 v21, v31, 2.0, -v5
	;; [unrolled: 1-line block ×10, first 2 shown]
	global_wb scope:SCOPE_SE
	s_barrier_signal -1
	s_barrier_wait -1
	global_inv scope:SCOPE_SE
	v_fma_f32 v34, v39, 2.0, -v14
	v_fma_f32 v35, v40, 2.0, -v15
	v_fma_f32 v37, v41, 2.0, -v16
	v_fma_f32 v38, v42, 2.0, -v17
	v_fma_f32 v39, v43, 2.0, -v18
	v_fma_f32 v40, v44, 2.0, -v19
	ds_store_2addr_b64 v57, v[20:21], v[4:5] offset1:38
	ds_store_2addr_b64 v59, v[26:27], v[6:7] offset1:38
	ds_store_2addr_b64 v60, v[28:29], v[8:9] offset1:38
	ds_store_2addr_b64 v61, v[30:31], v[10:11] offset1:38
	ds_store_2addr_b64 v62, v[32:33], v[12:13] offset1:38
	ds_store_2addr_b64 v63, v[34:35], v[14:15] offset1:38
	ds_store_2addr_b64 v22, v[37:38], v[16:17] offset1:38
	ds_store_2addr_b64 v64, v[39:40], v[18:19] offset1:38
	global_wb scope:SCOPE_SE
	s_wait_dscnt 0x0
	s_barrier_signal -1
	s_barrier_wait -1
	global_inv scope:SCOPE_SE
	global_load_b128 v[4:7], v66, s[14:15] offset:16
	v_lshlrev_b32_e32 v12, 3, v55
	v_mul_u32_u24_e32 v13, 3, v52
	s_clause 0x1
	global_load_b64 v[42:43], v66, s[14:15] offset:32
	global_load_b128 v[8:11], v12, s[14:15] offset:16
	v_and_b32_e32 v20, 3, v36
	v_lshlrev_b32_e32 v16, 3, v13
	s_clause 0x1
	global_load_b64 v[44:45], v12, s[14:15] offset:32
	global_load_b128 v[12:15], v16, s[14:15] offset:16
	v_mul_u32_u24_e32 v17, 3, v20
	v_lshlrev_b32_e32 v22, 2, v173
	v_lshlrev_b32_e32 v23, 2, v23
	v_add_nc_u32_e32 v30, 0x2680, v2
	v_add_nc_u32_e32 v34, 0x4540, v2
	v_lshlrev_b32_e32 v21, 3, v17
	s_clause 0x2
	global_load_b64 v[46:47], v16, s[14:15] offset:32
	global_load_b128 v[16:19], v21, s[14:15] offset:16
	global_load_b64 v[48:49], v21, s[14:15] offset:32
	v_and_or_b32 v22, 0x7ff0, v22, v51
	v_and_or_b32 v23, 0x7ff0, v23, v52
	ds_load_b64 v[50:51], v53
	v_lshlrev_b32_e32 v26, 2, v36
	v_lshl_or_b32 v21, v172, 2, v172
	v_mul_u32_u24_e32 v31, 0x98, v22
	v_mul_u32_u24_e32 v35, 0x98, v23
	s_delay_alu instid0(VALU_DEP_2)
	v_add3_u32 v63, 0, v31, v1
	ds_load_2addr_b64 v[30:33], v30 offset0:3 offset1:250
	v_add3_u32 v64, 0, v35, v1
	ds_load_2addr_b64 v[34:37], v34 offset0:7 offset1:254
	v_and_b32_e32 v21, 51, v21
	v_add_nc_u32_e32 v27, 0x54c0, v2
	s_wait_loadcnt_dscnt 0x702
	v_mul_f32_e32 v65, v5, v51
	v_mul_f32_e32 v5, v5, v50
	v_and_or_b32 v20, 0x7ff0, v26, v20
	v_add_nc_u32_e32 v26, 0x3600, v2
	s_wait_loadcnt_dscnt 0x501
	v_mul_f32_e32 v68, v9, v31
	v_mul_u32_u24_e32 v28, 0x98, v21
	v_mul_u32_u24_e32 v38, 0x98, v20
	ds_load_2addr_b64 v[20:23], v26 offset0:1 offset1:248
	s_wait_dscnt 0x1
	v_mul_f32_e32 v69, v35, v11
	v_fmac_f32_e32 v65, v4, v50
	v_add3_u32 v62, 0, v28, v1
	v_add3_u32 v1, 0, v38, v1
	s_wait_loadcnt 0x3
	v_mul_f32_e32 v72, v37, v15
	ds_load_2addr_b64 v[26:29], v27 offset0:5 offset1:252
	ds_load_2addr_b64 v[38:41], v58 offset0:3 offset1:250
	ds_load_b64 v[52:53], v2
	ds_load_b64 v[54:55], v54
	;; [unrolled: 1-line block ×4, first 2 shown]
	ds_load_b64 v[60:61], v2 offset:29640
	v_mul_f32_e32 v11, v34, v11
	v_fma_f32 v4, v4, v51, -v5
	v_fmac_f32_e32 v72, v36, v14
	v_fmac_f32_e32 v68, v8, v30
	global_wb scope:SCOPE_SE
	s_wait_loadcnt_dscnt 0x0
	s_barrier_signal -1
	s_barrier_wait -1
	global_inv scope:SCOPE_SE
                                        ; implicit-def: $vgpr51
	v_mul_f32_e32 v66, v7, v23
	v_dual_mul_f32 v7, v7, v22 :: v_dual_mul_f32 v74, v21, v17
	v_mul_f32_e32 v73, v41, v47
	s_delay_alu instid0(VALU_DEP_3) | instskip(NEXT) | instid1(VALU_DEP_3)
	v_dual_mul_f32 v71, v33, v13 :: v_dual_fmac_f32 v66, v6, v22
	v_dual_mul_f32 v75, v27, v19 :: v_dual_fmac_f32 v74, v20, v16
	v_mul_f32_e32 v76, v61, v49
	v_mul_f32_e32 v13, v32, v13
	v_dual_mul_f32 v19, v26, v19 :: v_dual_mul_f32 v70, v39, v45
	s_delay_alu instid0(VALU_DEP_3)
	v_dual_mul_f32 v9, v9, v30 :: v_dual_fmac_f32 v76, v60, v48
	v_dual_mul_f32 v17, v20, v17 :: v_dual_sub_f32 v20, v54, v72
	v_fmac_f32_e32 v75, v26, v18
	v_fmac_f32_e32 v69, v34, v10
	v_mul_f32_e32 v67, v43, v29
	v_mul_f32_e32 v43, v43, v28
	s_delay_alu instid0(VALU_DEP_4)
	v_dual_mul_f32 v45, v38, v45 :: v_dual_sub_f32 v22, v56, v75
	v_mul_f32_e32 v15, v36, v15
	v_fma_f32 v5, v6, v23, -v7
	v_fmac_f32_e32 v70, v38, v44
	v_fma_f32 v7, v8, v31, -v9
	v_fma_f32 v8, v35, v10, -v11
	;; [unrolled: 1-line block ×4, first 2 shown]
	v_sub_f32_e32 v18, v58, v69
	v_fmac_f32_e32 v67, v42, v28
	v_fma_f32 v6, v42, v29, -v43
	v_fma_f32 v9, v39, v44, -v45
	;; [unrolled: 1-line block ×3, first 2 shown]
	v_dual_sub_f32 v23, v57, v14 :: v_dual_sub_f32 v14, v74, v76
	v_fma_f32 v13, v21, v16, -v17
	v_dual_sub_f32 v16, v52, v66 :: v_dual_sub_f32 v17, v53, v5
	v_sub_f32_e32 v6, v4, v6
	v_mul_f32_e32 v47, v40, v47
	v_mul_f32_e32 v49, v60, v49
	s_delay_alu instid0(VALU_DEP_4)
	v_fma_f32 v28, v52, 2.0, -v16
	v_sub_f32_e32 v9, v7, v9
	v_fmac_f32_e32 v71, v32, v12
	v_fmac_f32_e32 v73, v40, v46
	v_dual_sub_f32 v19, v59, v8 :: v_dual_sub_f32 v8, v68, v70
	v_fma_f32 v27, v4, 2.0, -v6
	v_add_f32_e32 v4, v16, v6
	v_dual_add_f32 v6, v18, v9 :: v_dual_sub_f32 v5, v65, v67
	v_fma_f32 v12, v41, v46, -v47
	v_fma_f32 v15, v61, v48, -v49
	v_fma_f32 v32, v58, 2.0, -v18
	v_fma_f32 v34, v68, 2.0, -v8
	v_sub_f32_e32 v21, v55, v11
	v_fma_f32 v36, v54, 2.0, -v20
	v_dual_sub_f32 v11, v71, v73 :: v_dual_sub_f32 v12, v10, v12
	v_fma_f32 v26, v65, 2.0, -v5
	v_fma_f32 v40, v56, 2.0, -v22
	;; [unrolled: 1-line block ×3, first 2 shown]
	v_sub_f32_e32 v15, v13, v15
	v_fma_f32 v29, v53, 2.0, -v17
	v_fma_f32 v38, v71, 2.0, -v11
	;; [unrolled: 1-line block ×4, first 2 shown]
	v_sub_f32_e32 v10, v28, v26
	v_fma_f32 v35, v7, 2.0, -v9
	v_sub_f32_e32 v5, v17, v5
	v_sub_f32_e32 v7, v19, v8
	;; [unrolled: 1-line block ×5, first 2 shown]
	v_fma_f32 v37, v55, 2.0, -v21
	v_fma_f32 v41, v57, 2.0, -v23
	v_fma_f32 v43, v13, 2.0, -v15
	v_add_f32_e32 v8, v20, v12
	v_add_f32_e32 v30, v22, v15
	v_fma_f32 v12, v16, 2.0, -v4
	v_fma_f32 v16, v18, 2.0, -v6
	v_dual_sub_f32 v18, v36, v38 :: v_dual_sub_f32 v9, v21, v11
	v_sub_f32_e32 v11, v29, v27
	v_sub_f32_e32 v15, v33, v35
	v_fma_f32 v13, v17, 2.0, -v5
	v_fma_f32 v17, v19, 2.0, -v7
	v_sub_f32_e32 v19, v37, v39
	v_sub_f32_e32 v35, v41, v43
	v_fma_f32 v26, v22, 2.0, -v30
	v_fma_f32 v27, v23, 2.0, -v31
	;; [unrolled: 1-line block ×12, first 2 shown]
	ds_store_2addr_b64 v62, v[10:11], v[4:5] offset0:152 offset1:228
	ds_store_2addr_b64 v62, v[22:23], v[12:13] offset1:76
	ds_store_2addr_b64 v63, v[28:29], v[16:17] offset1:76
	ds_store_2addr_b64 v63, v[14:15], v[6:7] offset0:152 offset1:228
	ds_store_2addr_b64 v64, v[32:33], v[20:21] offset1:76
	ds_store_2addr_b64 v64, v[18:19], v[8:9] offset0:152 offset1:228
	;; [unrolled: 2-line block ×3, first 2 shown]
	global_wb scope:SCOPE_SE
	s_wait_dscnt 0x0
	s_barrier_signal -1
	s_barrier_wait -1
	global_inv scope:SCOPE_SE
	ds_load_b64 v[52:53], v2
	ds_load_b64 v[76:77], v2 offset:2432
	ds_load_b64 v[74:75], v2 offset:4864
	;; [unrolled: 1-line block ×12, first 2 shown]
                                        ; implicit-def: $vgpr47
                                        ; implicit-def: $vgpr49
                                        ; implicit-def: $vgpr41
                                        ; implicit-def: $vgpr33
                                        ; implicit-def: $vgpr29
                                        ; implicit-def: $vgpr37
                                        ; implicit-def: $vgpr39
                                        ; implicit-def: $vgpr43
                                        ; implicit-def: $vgpr45
	s_and_saveexec_b32 s17, s2
	s_cbranch_execz .LBB0_16
; %bb.15:
	ds_load_b64 v[26:27], v3
	ds_load_b64 v[34:35], v2 offset:4408
	ds_load_b64 v[30:31], v2 offset:6840
	ds_load_b64 v[46:47], v2 offset:9272
	ds_load_b64 v[48:49], v2 offset:11704
	ds_load_b64 v[50:51], v2 offset:14136
	ds_load_b64 v[40:41], v2 offset:16568
	ds_load_b64 v[44:45], v2 offset:19000
	ds_load_b64 v[42:43], v2 offset:21432
	ds_load_b64 v[38:39], v2 offset:23864
	ds_load_b64 v[36:37], v2 offset:26296
	ds_load_b64 v[28:29], v2 offset:28728
	ds_load_b64 v[32:33], v2 offset:31160
.LBB0_16:
	s_wait_alu 0xfffe
	s_or_b32 exec_lo, exec_lo, s17
	v_mul_u32_u24_e32 v0, 12, v172
	v_or_b32_e32 v175, 16, v172
	v_or_b32_e32 v176, 32, v172
	;; [unrolled: 1-line block ×4, first 2 shown]
	v_lshlrev_b32_e32 v16, 3, v0
	v_or_b32_e32 v179, 0x50, v172
	v_or_b32_e32 v180, 0x60, v172
	;; [unrolled: 1-line block ×4, first 2 shown]
	s_clause 0x5
	global_load_b128 v[12:15], v16, s[14:15] offset:112
	global_load_b128 v[8:11], v16, s[14:15] offset:128
	;; [unrolled: 1-line block ×6, first 2 shown]
	s_load_b64 s[0:1], s[0:1], 0x8
	v_mul_lo_u32 v79, v24, v175
	v_mul_lo_u32 v80, v24, v176
	;; [unrolled: 1-line block ×9, first 2 shown]
	v_and_b32_e32 v89, 0xff, v79
	v_lshrrev_b32_e32 v90, 5, v79
	v_and_b32_e32 v91, 0xff, v80
	v_lshrrev_b32_e32 v92, 5, v80
	;; [unrolled: 2-line block ×4, first 2 shown]
	v_lshrrev_b32_e32 v82, 13, v82
	v_lshrrev_b32_e32 v98, 5, v83
	;; [unrolled: 1-line block ×3, first 2 shown]
	v_and_b32_e32 v101, 0xff, v85
	v_and_b32_e32 v103, 0xff, v88
	;; [unrolled: 1-line block ×3, first 2 shown]
	v_lshrrev_b32_e32 v87, 5, v78
	v_lshrrev_b32_e32 v78, 13, v78
	;; [unrolled: 1-line block ×5, first 2 shown]
	v_and_b32_e32 v97, 0xff, v83
	v_and_b32_e32 v99, 0xff, v84
	v_lshrrev_b32_e32 v83, 13, v83
	v_lshrrev_b32_e32 v102, 5, v85
	;; [unrolled: 1-line block ×4, first 2 shown]
	v_lshlrev_b32_e32 v88, 3, v89
	v_and_b32_e32 v89, 0x7f8, v90
	v_lshlrev_b32_e32 v90, 3, v91
	v_and_b32_e32 v82, 0x7f8, v82
	v_and_b32_e32 v128, 0x7f8, v98
	;; [unrolled: 1-line block ×3, first 2 shown]
	v_lshlrev_b32_e32 v86, 3, v86
	v_lshrrev_b32_e32 v84, 13, v84
	v_lshrrev_b32_e32 v85, 13, v85
	v_and_b32_e32 v87, 0x7f8, v87
	v_and_b32_e32 v78, 0x7f8, v78
	;; [unrolled: 1-line block ×3, first 2 shown]
	v_lshlrev_b32_e32 v127, 3, v97
	v_and_b32_e32 v131, 0x7f8, v84
	v_and_b32_e32 v136, 0x7f8, v85
	v_or_b32_e32 v182, 0x90, v172
	v_or_b32_e32 v184, 0xa0, v172
	s_and_not1_b32 vcc_lo, exec_lo, s3
	s_delay_alu instid0(VALU_DEP_2) | instskip(NEXT) | instid1(VALU_DEP_1)
	v_mul_lo_u32 v124, v24, v182
	v_and_b32_e32 v126, 0xff, v124
	s_wait_loadcnt_dscnt 0x204
	v_dual_mul_f32 v138, v3, v63 :: v_dual_mul_f32 v137, v1, v65
	v_mul_f32_e32 v1, v1, v64
	v_mul_f32_e32 v3, v3, v62
	s_wait_loadcnt_dscnt 0x103
	v_mul_f32_e32 v139, v61, v21
	s_wait_dscnt 0x2
	v_dual_mul_f32 v21, v60, v21 :: v_dual_mul_f32 v140, v59, v23
	v_and_b32_e32 v91, 0x7f8, v92
	v_lshlrev_b32_e32 v92, 3, v93
	v_and_b32_e32 v93, 0x7f8, v94
	v_lshlrev_b32_e32 v94, 3, v95
	v_dual_mul_f32 v23, v58, v23 :: v_dual_lshlrev_b32 v132, 3, v101
	s_wait_loadcnt_dscnt 0x0
	v_mul_f32_e32 v142, v57, v19
	v_lshlrev_b32_e32 v134, 3, v103
	v_dual_fmac_f32 v138, v2, v62 :: v_dual_and_b32 v79, 0x7f8, v79
	s_delay_alu instid0(VALU_DEP_3)
	v_dual_fmac_f32 v142, v56, v18 :: v_dual_and_b32 v81, 0x7f8, v81
	v_and_b32_e32 v95, 0x7f8, v96
	v_fmac_f32_e32 v137, v0, v64
	v_fma_f32 v0, v0, v65, -v1
	v_fma_f32 v1, v2, v63, -v3
	;; [unrolled: 1-line block ×3, first 2 shown]
	v_and_b32_e32 v83, 0x7f8, v83
	v_fma_f32 v3, v59, v22, -v23
	v_and_b32_e32 v133, 0x7f8, v102
	v_lshlrev_b32_e32 v129, 3, v99
	v_and_b32_e32 v135, 0x7f8, v104
	v_dual_mul_f32 v19, v56, v19 :: v_dual_fmac_f32 v140, v58, v22
	s_wait_kmcnt 0x0
	s_clause 0x17
	global_load_b64 v[120:121], v86, s[0:1]
	global_load_b64 v[122:123], v87, s[0:1] offset:2048
	global_load_b64 v[118:119], v78, s[0:1] offset:4096
	global_load_b64 v[114:115], v88, s[0:1]
	global_load_b64 v[116:117], v89, s[0:1] offset:2048
	global_load_b64 v[108:109], v79, s[0:1] offset:4096
	;; [unrolled: 3-line block ×8, first 2 shown]
	v_mul_f32_e32 v129, v9, v73
	v_mul_f32_e32 v9, v9, v72
	;; [unrolled: 1-line block ×5, first 2 shown]
	v_dual_mul_f32 v5, v5, v68 :: v_dual_mul_f32 v136, v7, v67
	v_mul_f32_e32 v7, v7, v66
	v_fmac_f32_e32 v129, v8, v72
	v_fma_f32 v8, v8, v73, -v9
	v_mul_f32_e32 v128, v15, v75
	v_mul_f32_e32 v15, v15, v74
	;; [unrolled: 1-line block ×4, first 2 shown]
	v_fmac_f32_e32 v127, v12, v76
	v_fma_f32 v12, v12, v77, -v13
	v_fmac_f32_e32 v136, v6, v66
	v_add_f32_e32 v22, v8, v3
	v_fmac_f32_e32 v131, v4, v68
	v_fma_f32 v4, v4, v69, -v5
	v_fma_f32 v5, v6, v67, -v7
	;; [unrolled: 1-line block ×3, first 2 shown]
	v_mul_f32_e32 v144, 0xbf788fa5, v22
	v_fmac_f32_e32 v128, v14, v74
	v_fma_f32 v13, v14, v75, -v15
	v_fmac_f32_e32 v130, v10, v70
	v_fma_f32 v9, v10, v71, -v11
	v_dual_fmac_f32 v139, v60, v20 :: v_dual_mul_f32 v148, 0x3f62ad3f, v22
	v_mul_f32_e32 v141, v55, v17
	v_add_f32_e32 v11, v12, v53
	v_add_f32_e32 v15, v12, v6
	v_dual_sub_f32 v12, v12, v6 :: v_dual_mul_f32 v17, v54, v17
	v_sub_f32_e32 v58, v130, v139
	v_dual_fmac_f32 v141, v54, v16 :: v_dual_mul_f32 v150, 0x3f116cb1, v22
	s_delay_alu instid0(VALU_DEP_3) | instskip(NEXT) | instid1(VALU_DEP_4)
	v_mul_f32_e32 v60, 0xbf52af12, v12
	v_fma_f32 v7, v55, v16, -v17
	s_delay_alu instid0(VALU_DEP_3) | instskip(SKIP_1) | instid1(VALU_DEP_3)
	v_dual_mul_f32 v64, 0xbf6f5d39, v12 :: v_dual_add_f32 v17, v128, v141
	v_dual_sub_f32 v19, v128, v141 :: v_dual_mul_f32 v66, 0xbf29c268, v12
	v_add_f32_e32 v18, v13, v7
	v_sub_f32_e32 v20, v13, v7
	v_dual_add_f32 v57, v9, v2 :: v_dual_sub_f32 v54, v8, v3
	v_mul_f32_e32 v62, 0xbf7e222b, v12
	s_delay_alu instid0(VALU_DEP_4) | instskip(NEXT) | instid1(VALU_DEP_4)
	v_mul_f32_e32 v71, 0xbeb58ec6, v18
	v_mul_f32_e32 v68, 0xbf52af12, v20
	;; [unrolled: 1-line block ×7, first 2 shown]
	v_add_f32_e32 v10, v127, v52
	v_add_f32_e32 v14, v127, v142
	v_sub_f32_e32 v16, v127, v142
	v_dual_mul_f32 v70, 0xbf6f5d39, v20 :: v_dual_add_f32 v55, v130, v139
	s_delay_alu instid0(VALU_DEP_4) | instskip(SKIP_3) | instid1(VALU_DEP_4)
	v_dual_add_f32 v10, v10, v128 :: v_dual_add_f32 v11, v11, v13
	v_mul_f32_e32 v61, 0x3f116cb1, v15
	v_dual_mul_f32 v128, 0x3df6dbef, v22 :: v_dual_sub_f32 v23, v129, v140
	v_add_f32_e32 v21, v129, v140
	v_dual_mul_f32 v13, 0xbeedf032, v12 :: v_dual_add_f32 v10, v10, v129
	v_mul_f32_e32 v12, 0xbe750f2a, v12
	v_mul_f32_e32 v146, 0xbeb58ec6, v22
	;; [unrolled: 1-line block ×3, first 2 shown]
	v_dual_mul_f32 v149, 0xbf52af12, v54 :: v_dual_add_f32 v8, v11, v8
	v_dual_fmamk_f32 v154, v16, 0x3f52af12, v61 :: v_dual_fmamk_f32 v197, v23, 0x3f52af12, v150
	v_fmac_f32_e32 v150, 0xbf52af12, v23
	v_fmamk_f32 v153, v14, 0x3f116cb1, v60
	v_fma_f32 v60, 0x3f116cb1, v14, -v60
	v_dual_mul_f32 v59, 0x3f62ad3f, v15 :: v_dual_mul_f32 v168, 0x3f62ad3f, v57
	v_dual_mul_f32 v65, 0xbeb58ec6, v15 :: v_dual_mul_f32 v152, 0xbeb58ec6, v57
	;; [unrolled: 1-line block ×4, first 2 shown]
	s_delay_alu instid0(VALU_DEP_2)
	v_dual_mul_f32 v74, 0x3f29c268, v20 :: v_dual_fmamk_f32 v161, v16, 0x3f29c268, v67
	v_fmamk_f32 v160, v14, 0xbf3f9e67, v66
	v_fma_f32 v66, 0xbf3f9e67, v14, -v66
	v_fmamk_f32 v162, v14, 0xbf788fa5, v12
	v_fmamk_f32 v164, v17, 0xbeb58ec6, v70
	v_dual_fmamk_f32 v165, v19, 0x3f6f5d39, v71 :: v_dual_add_f32 v154, v154, v53
	s_delay_alu instid0(VALU_DEP_4)
	v_add_f32_e32 v66, v66, v52
	v_add_f32_e32 v60, v60, v52
	v_mul_f32_e32 v76, 0x3f7e222b, v20
	v_dual_mul_f32 v20, 0x3eedf032, v20 :: v_dual_mul_f32 v147, 0x3eedf032, v54
	v_fmamk_f32 v187, v19, 0xbf7e222b, v77
	v_fmac_f32_e32 v77, 0x3f7e222b, v19
	s_delay_alu instid0(VALU_DEP_4)
	v_dual_mul_f32 v63, 0x3df6dbef, v15 :: v_dual_fmamk_f32 v186, v17, 0x3df6dbef, v76
	v_mul_f32_e32 v15, 0xbf788fa5, v15
	v_mul_f32_e32 v127, 0xbf7e222b, v54
	;; [unrolled: 1-line block ×4, first 2 shown]
	v_dual_fmamk_f32 v11, v14, 0x3f62ad3f, v13 :: v_dual_fmamk_f32 v188, v17, 0x3f62ad3f, v20
	v_fmamk_f32 v129, v16, 0x3eedf032, v59
	v_dual_fmac_f32 v59, 0xbeedf032, v16 :: v_dual_fmamk_f32 v196, v23, 0xbeedf032, v148
	s_delay_alu instid0(VALU_DEP_3)
	v_dual_fmamk_f32 v156, v16, 0x3f7e222b, v63 :: v_dual_add_f32 v11, v11, v52
	v_dual_fmac_f32 v63, 0xbf7e222b, v16 :: v_dual_add_f32 v8, v8, v9
	v_dual_fmac_f32 v71, 0xbf6f5d39, v19 :: v_dual_add_f32 v162, v162, v52
	v_fmamk_f32 v195, v23, 0xbf6f5d39, v146
	v_fmac_f32_e32 v146, 0x3f6f5d39, v23
	v_dual_fmamk_f32 v157, v14, 0xbeb58ec6, v64 :: v_dual_fmamk_f32 v190, v21, 0xbeb58ec6, v145
	v_fma_f32 v64, 0xbeb58ec6, v14, -v64
	v_fmamk_f32 v155, v14, 0x3df6dbef, v62
	v_fma_f32 v62, 0x3df6dbef, v14, -v62
	v_sub_f32_e32 v56, v9, v2
	v_fma_f32 v13, 0x3f62ad3f, v14, -v13
	v_add_f32_e32 v64, v64, v52
	v_dual_fmac_f32 v61, 0xbf52af12, v16 :: v_dual_add_f32 v156, v156, v53
	v_dual_fmamk_f32 v159, v16, 0x3f6f5d39, v65 :: v_dual_add_f32 v62, v62, v52
	v_fmac_f32_e32 v67, 0xbf29c268, v16
	v_dual_fmamk_f32 v163, v16, 0x3e750f2a, v15 :: v_dual_fmamk_f32 v194, v23, 0x3e750f2a, v144
	v_fma_f32 v12, 0xbf788fa5, v14, -v12
	v_dual_fmac_f32 v15, 0xbe750f2a, v16 :: v_dual_fmac_f32 v144, 0xbe750f2a, v23
	v_fmamk_f32 v14, v17, 0x3f116cb1, v68
	v_fmac_f32_e32 v65, 0xbf6f5d39, v16
	s_delay_alu instid0(VALU_DEP_4)
	v_dual_fmamk_f32 v169, v17, 0xbf788fa5, v72 :: v_dual_add_f32 v12, v12, v52
	v_dual_fmamk_f32 v170, v19, 0x3e750f2a, v73 :: v_dual_add_f32 v13, v13, v52
	v_fma_f32 v72, 0xbf788fa5, v17, -v72
	v_fmamk_f32 v192, v21, 0x3f116cb1, v149
	v_fmac_f32_e32 v148, 0x3eedf032, v23
	v_dual_fmamk_f32 v16, v19, 0x3f52af12, v69 :: v_dual_add_f32 v129, v129, v53
	v_dual_fmac_f32 v69, 0xbf52af12, v19 :: v_dual_add_f32 v160, v160, v52
	v_dual_fmamk_f32 v198, v23, 0x3f29c268, v22 :: v_dual_add_f32 v153, v153, v52
	v_fmac_f32_e32 v73, 0xbe750f2a, v19
	v_add_f32_e32 v59, v59, v53
	v_dual_add_f32 v63, v63, v53 :: v_dual_mul_f32 v158, 0x3f29c268, v56
	v_mul_f32_e32 v167, 0x3eedf032, v56
	v_fma_f32 v68, 0x3f116cb1, v17, -v68
	v_fma_f32 v70, 0xbeb58ec6, v17, -v70
	v_dual_fmamk_f32 v171, v17, 0xbf3f9e67, v74 :: v_dual_add_f32 v62, v72, v62
	v_fmamk_f32 v185, v19, 0xbf29c268, v75
	v_fma_f32 v74, 0xbf3f9e67, v17, -v74
	v_fmac_f32_e32 v75, 0x3f29c268, v19
	v_fma_f32 v76, 0x3df6dbef, v17, -v76
	v_fma_f32 v17, 0x3f62ad3f, v17, -v20
	;; [unrolled: 1-line block ×4, first 2 shown]
	v_fmamk_f32 v191, v21, 0x3f62ad3f, v147
	v_fma_f32 v147, 0x3f62ad3f, v21, -v147
	v_fma_f32 v149, 0x3f116cb1, v21, -v149
	v_dual_fmamk_f32 v193, v21, 0xbf3f9e67, v54 :: v_dual_add_f32 v66, v76, v66
	v_add_f32_e32 v61, v61, v53
	v_add_f32_e32 v157, v157, v52
	v_dual_add_f32 v161, v161, v53 :: v_dual_add_f32 v72, v188, v162
	v_add_f32_e32 v9, v10, v130
	v_dual_add_f32 v10, v14, v11 :: v_dual_add_f32 v11, v16, v129
	;; [unrolled: 2-line block ×3, first 2 shown]
	v_add_f32_e32 v155, v155, v52
	v_fmamk_f32 v189, v19, 0xbeedf032, v18
	v_fmac_f32_e32 v18, 0x3eedf032, v19
	v_fmamk_f32 v19, v21, 0x3df6dbef, v127
	v_dual_fmamk_f32 v127, v21, 0xbf788fa5, v143 :: v_dual_add_f32 v64, v74, v64
	v_fma_f32 v143, 0xbf788fa5, v21, -v143
	v_fma_f32 v21, 0xbf3f9e67, v21, -v54
	v_fmamk_f32 v54, v23, 0x3f7e222b, v128
	v_fmac_f32_e32 v128, 0xbf7e222b, v23
	v_dual_fmac_f32 v22, 0xbf29c268, v23 :: v_dual_add_f32 v65, v65, v53
	v_add_f32_e32 v16, v127, v16
	v_dual_add_f32 v67, v67, v53 :: v_dual_add_f32 v66, v149, v66
	v_add_f32_e32 v163, v163, v53
	v_dual_add_f32 v15, v15, v53 :: v_dual_add_f32 v52, v165, v154
	v_dual_add_f32 v14, v128, v14 :: v_dual_add_f32 v59, v71, v61
	v_add_f32_e32 v71, v187, v161
	v_add_f32_e32 v159, v159, v53
	;; [unrolled: 1-line block ×3, first 2 shown]
	v_mul_f32_e32 v151, 0xbf6f5d39, v56
	v_dual_add_f32 v13, v68, v13 :: v_dual_add_f32 v60, v169, v155
	s_delay_alu instid0(VALU_DEP_3)
	v_dual_add_f32 v15, v18, v15 :: v_dual_add_f32 v18, v143, v53
	v_dual_add_f32 v68, v171, v157 :: v_dual_fmamk_f32 v199, v58, 0x3f6f5d39, v152
	v_add_f32_e32 v10, v19, v10
	v_dual_fmac_f32 v152, 0xbf6f5d39, v58 :: v_dual_add_f32 v65, v75, v65
	v_add_f32_e32 v61, v170, v156
	v_dual_add_f32 v13, v20, v13 :: v_dual_add_f32 v20, v190, v60
	s_delay_alu instid0(VALU_DEP_3)
	v_add_f32_e32 v14, v152, v14
	v_add_f32_e32 v19, v144, v59
	v_dual_add_f32 v59, v145, v62 :: v_dual_add_f32 v8, v8, v4
	v_add_f32_e32 v70, v186, v160
	v_dual_add_f32 v60, v146, v63 :: v_dual_add_f32 v63, v147, v64
	v_add_f32_e32 v64, v148, v65
	v_fmamk_f32 v74, v55, 0xbf3f9e67, v158
	v_fma_f32 v76, 0xbf3f9e67, v55, -v158
	v_dual_add_f32 v11, v54, v11 :: v_dual_add_f32 v54, v195, v61
	v_dual_add_f32 v61, v191, v68 :: v_dual_add_f32 v8, v8, v5
	v_dual_fmamk_f32 v23, v55, 0xbeb58ec6, v151 :: v_dual_add_f32 v12, v17, v12
	v_add_f32_e32 v68, v197, v71
	v_mul_lo_u32 v71, v24, v184
	v_add_f32_e32 v69, v185, v159
	v_dual_add_f32 v15, v22, v15 :: v_dual_add_f32 v8, v8, v0
	v_add_f32_e32 v12, v21, v12
	v_dual_add_f32 v73, v189, v163 :: v_dual_add_f32 v16, v74, v16
	v_and_b32_e32 v22, 0x7f8, v125
	v_add_f32_e32 v10, v23, v10
	v_lshlrev_b32_e32 v23, 3, v126
	v_fma_f32 v151, 0xbeb58ec6, v55, -v151
	v_dual_add_f32 v62, v196, v69 :: v_dual_add_f32 v69, v193, v72
	v_add_f32_e32 v8, v8, v1
	v_lshrrev_b32_e32 v21, 5, v124
	v_add_f32_e32 v17, v194, v52
	s_clause 0x3
	global_load_b64 v[146:147], v134, s[0:1]
	global_load_b64 v[148:149], v135, s[0:1] offset:2048
	global_load_b64 v[144:145], v22, s[0:1] offset:4096
	global_load_b64 v[52:53], v23, s[0:1]
	v_lshrrev_b32_e32 v22, 13, v124
	v_dual_mul_f32 v72, 0xbf7e222b, v56 :: v_dual_add_f32 v65, v192, v70
	v_dual_add_f32 v70, v198, v73 :: v_dual_and_b32 v23, 0xff, v71
	v_lshrrev_b32_e32 v73, 5, v71
	v_add_f32_e32 v67, v77, v67
	v_and_b32_e32 v21, 0x7f8, v21
	v_dual_add_f32 v13, v151, v13 :: v_dual_add_f32 v2, v8, v2
	v_or_b32_e32 v185, 0xb0, v172
	v_or_b32_e32 v186, 0xc0, v172
	v_and_b32_e32 v22, 0x7f8, v22
	v_lshlrev_b32_e32 v23, 3, v23
	v_dual_add_f32 v2, v2, v3 :: v_dual_and_b32 v73, 0x7f8, v73
	v_add_f32_e32 v67, v150, v67
	v_mul_lo_u32 v75, v24, v185
	s_clause 0x3
	global_load_b64 v[156:157], v21, s[0:1] offset:2048
	global_load_b64 v[150:151], v22, s[0:1] offset:4096
	global_load_b64 v[152:153], v23, s[0:1]
	global_load_b64 v[154:155], v73, s[0:1] offset:2048
	v_mul_lo_u32 v21, v24, v186
	v_lshrrev_b32_e32 v22, 13, v71
	v_dual_add_f32 v2, v2, v7 :: v_dual_mul_f32 v7, 0x3f52af12, v56
	v_dual_add_f32 v18, v76, v18 :: v_dual_and_b32 v23, 0xff, v75
	s_delay_alu instid0(VALU_DEP_2) | instskip(SKIP_4) | instid1(VALU_DEP_4)
	v_dual_add_f32 v2, v2, v6 :: v_dual_and_b32 v77, 0xff, v21
	v_lshrrev_b32_e32 v71, 5, v75
	v_lshrrev_b32_e32 v75, 13, v75
	v_and_b32_e32 v22, 0x7f8, v22
	v_dual_fmamk_f32 v6, v55, 0x3f116cb1, v7 :: v_dual_lshlrev_b32 v23, 3, v23
	v_and_b32_e32 v71, 0x7f8, v71
	s_delay_alu instid0(VALU_DEP_4)
	v_and_b32_e32 v74, 0x7f8, v75
	s_clause 0x3
	global_load_b64 v[160:161], v22, s[0:1] offset:4096
	global_load_b64 v[162:163], v23, s[0:1]
	global_load_b64 v[164:165], v71, s[0:1] offset:2048
	global_load_b64 v[158:159], v74, s[0:1] offset:4096
	v_mul_f32_e32 v22, 0x3df6dbef, v57
	v_fma_f32 v71, 0x3f62ad3f, v55, -v167
	v_add_f32_e32 v11, v199, v11
	v_fmamk_f32 v23, v58, 0xbeedf032, v168
	v_dual_fmamk_f32 v75, v55, 0x3f62ad3f, v167 :: v_dual_add_f32 v6, v6, v69
	s_delay_alu instid0(VALU_DEP_4) | instskip(SKIP_2) | instid1(VALU_DEP_4)
	v_add_f32_e32 v59, v71, v59
	v_fmamk_f32 v71, v58, 0x3f7e222b, v22
	v_fmac_f32_e32 v22, 0xbf7e222b, v58
	v_add_f32_e32 v20, v75, v20
	v_dual_fmac_f32 v168, 0x3eedf032, v58 :: v_dual_lshlrev_b32 v77, 3, v77
	s_delay_alu instid0(VALU_DEP_3)
	v_dual_add_f32 v62, v71, v62 :: v_dual_add_f32 v3, v22, v64
	v_sub_f32_e32 v64, v4, v1
	v_add_f32_e32 v1, v4, v1
	v_fma_f32 v4, 0x3f116cb1, v55, -v7
	v_sub_f32_e32 v7, v131, v138
	v_add_f32_e32 v23, v23, v54
	v_fmamk_f32 v54, v55, 0x3df6dbef, v72
	v_fma_f32 v72, 0x3df6dbef, v55, -v72
	v_dual_mul_f32 v71, 0xbf788fa5, v57 :: v_dual_add_f32 v60, v168, v60
	v_add_f32_e32 v4, v4, v12
	s_delay_alu instid0(VALU_DEP_4) | instskip(NEXT) | instid1(VALU_DEP_4)
	v_dual_add_f32 v54, v54, v61 :: v_dual_mul_f32 v61, 0x3e750f2a, v56
	v_add_f32_e32 v8, v72, v63
	s_delay_alu instid0(VALU_DEP_4)
	v_fmamk_f32 v72, v58, 0xbe750f2a, v71
	v_mul_f32_e32 v57, 0x3f116cb1, v57
	v_lshrrev_b32_e32 v124, 5, v21
	v_fma_f32 v56, 0xbf788fa5, v55, -v61
	v_fmamk_f32 v73, v58, 0xbf29c268, v166
	v_fmamk_f32 v63, v55, 0xbf788fa5, v61
	;; [unrolled: 1-line block ×3, first 2 shown]
	v_fmac_f32_e32 v57, 0x3f52af12, v58
	v_add_f32_e32 v56, v56, v66
	s_delay_alu instid0(VALU_DEP_4) | instskip(SKIP_2) | instid1(VALU_DEP_3)
	v_dual_fmac_f32 v71, 0x3e750f2a, v58 :: v_dual_add_f32 v22, v63, v65
	v_add_f32_e32 v66, v131, v138
	v_dual_fmac_f32 v166, 0x3f29c268, v58 :: v_dual_add_f32 v17, v73, v17
	v_add_f32_e32 v65, v71, v67
	v_dual_mul_f32 v67, 0xbf29c268, v64 :: v_dual_add_f32 v12, v57, v15
	s_delay_alu instid0(VALU_DEP_3) | instskip(SKIP_1) | instid1(VALU_DEP_3)
	v_dual_add_f32 v19, v166, v19 :: v_dual_mul_f32 v58, 0xbf3f9e67, v1
	v_add_f32_e32 v63, v72, v68
	v_fmamk_f32 v55, v66, 0xbf3f9e67, v67
	v_add_f32_e32 v9, v9, v131
	v_fma_f32 v57, 0xbf3f9e67, v66, -v67
	v_mul_f32_e32 v68, 0x3df6dbef, v1
	v_and_b32_e32 v124, 0x7f8, v124
	s_delay_alu instid0(VALU_DEP_4) | instskip(NEXT) | instid1(VALU_DEP_4)
	v_dual_add_f32 v10, v55, v10 :: v_dual_add_f32 v9, v9, v136
	v_add_f32_e32 v13, v57, v13
	v_fmamk_f32 v55, v7, 0x3f29c268, v58
	v_mul_f32_e32 v15, 0x3f7e222b, v64
	s_delay_alu instid0(VALU_DEP_4) | instskip(SKIP_1) | instid1(VALU_DEP_4)
	v_dual_fmac_f32 v58, 0xbf29c268, v7 :: v_dual_add_f32 v9, v9, v137
	v_mul_f32_e32 v57, 0xbf52af12, v64
	v_add_f32_e32 v11, v55, v11
	v_fmamk_f32 v55, v7, 0xbf7e222b, v68
	s_delay_alu instid0(VALU_DEP_4) | instskip(SKIP_3) | instid1(VALU_DEP_4)
	v_dual_fmac_f32 v68, 0x3f7e222b, v7 :: v_dual_add_f32 v9, v9, v138
	v_fmamk_f32 v67, v66, 0x3df6dbef, v15
	v_add_f32_e32 v14, v58, v14
	v_fma_f32 v15, 0x3df6dbef, v66, -v15
	v_dual_mul_f32 v58, 0x3f116cb1, v1 :: v_dual_add_f32 v9, v9, v139
	v_add_f32_e32 v17, v55, v17
	v_fmamk_f32 v55, v66, 0x3f116cb1, v57
	s_delay_alu instid0(VALU_DEP_4) | instskip(NEXT) | instid1(VALU_DEP_4)
	v_add_f32_e32 v15, v15, v18
	v_dual_fmamk_f32 v18, v7, 0x3f52af12, v58 :: v_dual_add_f32 v9, v9, v140
	v_fmac_f32_e32 v58, 0xbf52af12, v7
	s_delay_alu instid0(VALU_DEP_4)
	v_add_f32_e32 v20, v55, v20
	v_fma_f32 v55, 0x3f116cb1, v66, -v57
	v_add_f32_e32 v187, v68, v19
	v_dual_add_f32 v9, v9, v141 :: v_dual_add_f32 v18, v18, v23
	s_wait_loadcnt 0xd
	v_mul_f32_e32 v212, v78, v81
	v_dual_add_f32 v188, v55, v59 :: v_dual_add_f32 v55, v58, v60
	v_mul_f32_e32 v19, 0x3e750f2a, v64
	v_dual_mul_f32 v58, 0x3eedf032, v64 :: v_dual_add_f32 v9, v9, v142
	v_mul_f32_e32 v60, 0x3f62ad3f, v1
	s_delay_alu instid0(VALU_DEP_3) | instskip(SKIP_1) | instid1(VALU_DEP_4)
	v_dual_fmac_f32 v212, v79, v80 :: v_dual_fmamk_f32 v23, v66, 0xbf788fa5, v19
	v_fma_f32 v19, 0xbf788fa5, v66, -v19
	v_fmamk_f32 v59, v66, 0x3f62ad3f, v58
	s_delay_alu instid0(VALU_DEP_3) | instskip(NEXT) | instid1(VALU_DEP_3)
	v_add_f32_e32 v23, v23, v54
	v_add_f32_e32 v8, v19, v8
	v_fmamk_f32 v19, v7, 0xbeedf032, v60
	v_fmac_f32_e32 v60, 0x3eedf032, v7
	v_mul_f32_e32 v57, 0xbf788fa5, v1
	v_mul_f32_e32 v1, 0xbeb58ec6, v1
	s_delay_alu instid0(VALU_DEP_2) | instskip(NEXT) | instid1(VALU_DEP_1)
	v_fmamk_f32 v54, v7, 0xbe750f2a, v57
	v_dual_fmac_f32 v57, 0x3e750f2a, v7 :: v_dual_add_f32 v54, v54, v62
	s_delay_alu instid0(VALU_DEP_1) | instskip(SKIP_2) | instid1(VALU_DEP_2)
	v_add_f32_e32 v189, v57, v3
	v_dual_add_f32 v3, v59, v22 :: v_dual_mul_f32 v22, 0xbf6f5d39, v64
	v_fma_f32 v57, 0x3f62ad3f, v66, -v58
	v_fmamk_f32 v58, v66, 0xbeb58ec6, v22
	s_delay_alu instid0(VALU_DEP_2) | instskip(SKIP_4) | instid1(VALU_DEP_4)
	v_dual_add_f32 v56, v57, v56 :: v_dual_add_f32 v57, v60, v65
	v_sub_f32_e32 v60, v5, v0
	v_add_f32_e32 v61, v61, v70
	v_fma_f32 v22, 0xbeb58ec6, v66, -v22
	v_add_f32_e32 v0, v5, v0
	v_dual_add_f32 v6, v58, v6 :: v_dual_mul_f32 v5, 0xbe750f2a, v60
	s_delay_alu instid0(VALU_DEP_3)
	v_dual_add_f32 v4, v22, v4 :: v_dual_fmamk_f32 v59, v7, 0x3f6f5d39, v1
	v_fmac_f32_e32 v1, 0xbf6f5d39, v7
	v_sub_f32_e32 v7, v136, v137
	v_mul_f32_e32 v193, 0x3f62ad3f, v0
	v_mul_f32_e32 v196, 0x3f116cb1, v0
	v_add_f32_e32 v58, v59, v61
	v_add_f32_e32 v59, v136, v137
	v_mul_f32_e32 v61, 0xbf788fa5, v0
	v_add_f32_e32 v166, v1, v12
	v_mul_f32_e32 v1, 0x3eedf032, v60
	v_mul_f32_e32 v170, 0x3df6dbef, v0
	v_fmamk_f32 v62, v59, 0xbf788fa5, v5
	v_fmamk_f32 v12, v7, 0x3e750f2a, v61
	v_fma_f32 v5, 0xbf788fa5, v59, -v5
	v_fmac_f32_e32 v61, 0xbe750f2a, v7
	v_fmamk_f32 v22, v59, 0x3f62ad3f, v1
	v_add_f32_e32 v10, v62, v10
	v_fma_f32 v1, 0x3f62ad3f, v59, -v1
	v_add_f32_e32 v190, v5, v13
	v_add_f32_e32 v191, v61, v14
	v_fmamk_f32 v13, v7, 0xbeedf032, v193
	v_dual_mul_f32 v14, 0xbf3f9e67, v0 :: v_dual_add_f32 v11, v12, v11
	s_delay_alu instid0(VALU_DEP_2) | instskip(NEXT) | instid1(VALU_DEP_2)
	v_dual_mul_f32 v12, 0xbf29c268, v60 :: v_dual_add_f32 v13, v13, v17
	v_fmamk_f32 v17, v7, 0x3f29c268, v14
	v_fmac_f32_e32 v14, 0xbf29c268, v7
	v_add_f32_e32 v192, v1, v15
	v_add_f32_e32 v16, v67, v16
	v_mul_f32_e32 v1, 0x3f52af12, v60
	v_fma_f32 v197, 0xbf3f9e67, v59, -v12
	v_add_f32_e32 v194, v14, v55
	s_delay_alu instid0(VALU_DEP_4) | instskip(SKIP_1) | instid1(VALU_DEP_1)
	v_dual_mul_f32 v14, v120, v123 :: v_dual_add_f32 v5, v22, v16
	v_fmamk_f32 v16, v59, 0xbf3f9e67, v12
	v_dual_fmac_f32 v14, v121, v122 :: v_dual_add_f32 v15, v16, v20
	v_dual_add_f32 v16, v17, v18 :: v_dual_fmamk_f32 v17, v59, 0x3f116cb1, v1
	v_fma_f32 v1, 0x3f116cb1, v59, -v1
	v_fmamk_f32 v18, v7, 0xbf52af12, v196
	s_delay_alu instid0(VALU_DEP_2) | instskip(SKIP_1) | instid1(VALU_DEP_3)
	v_dual_fmac_f32 v196, 0x3f52af12, v7 :: v_dual_add_f32 v195, v1, v8
	v_mul_f32_e32 v8, 0xbf6f5d39, v60
	v_dual_add_f32 v12, v18, v54 :: v_dual_mul_f32 v1, v121, v123
	v_add_f32_e32 v167, v17, v23
	s_delay_alu instid0(VALU_DEP_3) | instskip(SKIP_1) | instid1(VALU_DEP_4)
	v_dual_mul_f32 v17, 0xbeb58ec6, v0 :: v_dual_fmamk_f32 v18, v59, 0xbeb58ec6, v8
	v_fma_f32 v8, 0xbeb58ec6, v59, -v8
	v_fma_f32 v1, v120, v122, -v1
	s_delay_alu instid0(VALU_DEP_3) | instskip(SKIP_1) | instid1(VALU_DEP_3)
	v_add_f32_e32 v169, v18, v3
	v_mul_f32_e32 v3, v14, v119
	v_mul_f32_e32 v22, v1, v119
	v_dual_add_f32 v198, v8, v56 :: v_dual_add_f32 v19, v19, v63
	v_mul_f32_e32 v8, v114, v117
	s_delay_alu instid0(VALU_DEP_4) | instskip(NEXT) | instid1(VALU_DEP_4)
	v_fma_f32 v1, v118, v1, -v3
	v_dual_fmac_f32 v22, v118, v14 :: v_dual_mul_f32 v3, v115, v117
	v_mul_f32_e32 v14, 0x3f7e222b, v60
	v_fmamk_f32 v20, v7, 0x3f6f5d39, v17
	v_fmac_f32_e32 v8, v115, v116
	s_delay_alu instid0(VALU_DEP_4) | instskip(SKIP_1) | instid1(VALU_DEP_4)
	v_mul_f32_e32 v140, v2, v22
	v_fma_f32 v3, v114, v116, -v3
	v_dual_fmamk_f32 v0, v59, 0x3df6dbef, v14 :: v_dual_add_f32 v171, v20, v19
	s_delay_alu instid0(VALU_DEP_4) | instskip(NEXT) | instid1(VALU_DEP_4)
	v_mul_f32_e32 v19, v8, v109
	v_fmac_f32_e32 v140, v9, v1
	s_delay_alu instid0(VALU_DEP_4) | instskip(SKIP_3) | instid1(VALU_DEP_4)
	v_dual_mul_f32 v18, v3, v109 :: v_dual_mul_f32 v9, v9, v22
	v_mul_f32_e32 v20, v110, v113
	v_add_f32_e32 v206, v0, v6
	v_and_b32_e32 v6, 15, v173
	v_fmac_f32_e32 v18, v108, v8
	v_fma_f32 v141, v2, v1, -v9
	v_fma_f32 v2, v108, v3, -v19
	v_dual_fmac_f32 v20, v111, v112 :: v_dual_mul_f32 v9, v104, v107
	s_delay_alu instid0(VALU_DEP_4) | instskip(SKIP_2) | instid1(VALU_DEP_4)
	v_mul_f32_e32 v142, v11, v18
	v_dual_mul_f32 v18, v10, v18 :: v_dual_mul_f32 v3, v105, v107
	v_fma_f32 v0, 0x3df6dbef, v59, -v14
	v_fmac_f32_e32 v9, v105, v106
	s_delay_alu instid0(VALU_DEP_4) | instskip(NEXT) | instid1(VALU_DEP_4)
	v_fmac_f32_e32 v142, v10, v2
	v_fma_f32 v143, v11, v2, -v18
	v_mul_f32_e32 v2, v96, v99
	v_fma_f32 v3, v104, v106, -v3
	v_dual_mul_f32 v10, v9, v101 :: v_dual_add_f32 v209, v0, v4
	v_mul_lo_u32 v4, v24, v6
	s_delay_alu instid0(VALU_DEP_4) | instskip(SKIP_3) | instid1(VALU_DEP_4)
	v_dual_fmac_f32 v2, v97, v98 :: v_dual_fmac_f32 v17, 0xbf6f5d39, v7
	v_mul_u32_u24_e32 v0, 12, v6
	v_or_b32_e32 v11, 0x70, v6
	v_or_b32_e32 v23, 0xb0, v6
	v_add_f32_e32 v199, v17, v57
	v_mul_f32_e32 v17, v111, v113
	s_delay_alu instid0(VALU_DEP_4) | instskip(NEXT) | instid1(VALU_DEP_4)
	v_mul_lo_u32 v11, v24, v11
	v_mul_lo_u32 v23, v24, v23
	s_delay_alu instid0(VALU_DEP_3) | instskip(SKIP_1) | instid1(VALU_DEP_4)
	v_fma_f32 v1, v110, v112, -v17
	v_mul_f32_e32 v17, v20, v103
	v_lshrrev_b32_e32 v18, 5, v11
	s_delay_alu instid0(VALU_DEP_3) | instskip(NEXT) | instid1(VALU_DEP_3)
	v_mul_f32_e32 v8, v1, v103
	v_fma_f32 v1, v102, v1, -v17
	v_mul_f32_e32 v17, v3, v101
	v_fma_f32 v3, v100, v3, -v10
	v_mul_f32_e32 v10, v2, v95
	v_dual_fmac_f32 v8, v102, v20 :: v_dual_fmac_f32 v193, 0x3eedf032, v7
	s_delay_alu instid0(VALU_DEP_1) | instskip(NEXT) | instid1(VALU_DEP_1)
	v_dual_mul_f32 v138, v13, v8 :: v_dual_and_b32 v57, 0xff, v23
	v_fmac_f32_e32 v138, v5, v1
	v_mul_f32_e32 v5, v5, v8
	v_mul_f32_e32 v8, v97, v99
	s_delay_alu instid0(VALU_DEP_2) | instskip(NEXT) | instid1(VALU_DEP_2)
	v_fma_f32 v139, v13, v1, -v5
	v_fma_f32 v8, v96, v98, -v8
	v_mul_f32_e32 v5, v88, v93
	v_or_b32_e32 v13, 0x80, v6
	s_delay_alu instid0(VALU_DEP_3) | instskip(SKIP_1) | instid1(VALU_DEP_4)
	v_mul_f32_e32 v1, v8, v95
	v_fma_f32 v168, v94, v8, -v10
	v_dual_mul_f32 v8, v91, v87 :: v_dual_fmac_f32 v5, v89, v92
	s_delay_alu instid0(VALU_DEP_4) | instskip(NEXT) | instid1(VALU_DEP_2)
	v_mul_lo_u32 v13, v24, v13
	v_fma_f32 v8, v90, v86, -v8
	s_delay_alu instid0(VALU_DEP_1) | instskip(SKIP_1) | instid1(VALU_DEP_4)
	v_mul_f32_e32 v210, v8, v83
	v_fmac_f32_e32 v17, v100, v9
	v_lshrrev_b32_e32 v20, 5, v13
	s_delay_alu instid0(VALU_DEP_2) | instskip(SKIP_2) | instid1(VALU_DEP_3)
	v_mul_f32_e32 v134, v16, v17
	v_mul_f32_e32 v9, v15, v17
	v_or_b32_e32 v17, 0x90, v6
	v_fmac_f32_e32 v134, v15, v3
	s_delay_alu instid0(VALU_DEP_3) | instskip(SKIP_4) | instid1(VALU_DEP_4)
	v_fma_f32 v135, v16, v3, -v9
	v_mul_f32_e32 v3, v89, v93
	v_lshrrev_b32_e32 v9, 13, v21
	v_or_b32_e32 v21, 0xa0, v6
	v_mul_lo_u32 v17, v24, v17
	v_fma_f32 v3, v88, v92, -v3
	s_delay_alu instid0(VALU_DEP_3) | instskip(NEXT) | instid1(VALU_DEP_2)
	v_mul_lo_u32 v21, v24, v21
	v_dual_mul_f32 v208, v3, v85 :: v_dual_fmac_f32 v1, v94, v2
	v_mul_f32_e32 v2, v90, v87
	v_and_b32_e32 v22, 0xff, v17
	v_lshrrev_b32_e32 v54, 5, v17
	s_delay_alu instid0(VALU_DEP_4) | instskip(SKIP_3) | instid1(VALU_DEP_3)
	v_fmac_f32_e32 v208, v84, v5
	v_mul_f32_e32 v10, v167, v1
	v_dual_mul_f32 v136, v12, v1 :: v_dual_fmamk_f32 v1, v7, 0xbf7e222b, v170
	v_dual_fmac_f32 v2, v91, v86 :: v_dual_and_b32 v9, 0x7f8, v9
	v_fma_f32 v137, v12, v168, -v10
	s_delay_alu instid0(VALU_DEP_3) | instskip(NEXT) | instid1(VALU_DEP_3)
	v_dual_fmac_f32 v136, v167, v168 :: v_dual_add_f32 v207, v1, v58
	v_dual_mul_f32 v1, v5, v85 :: v_dual_fmac_f32 v210, v82, v2
	v_mul_f32_e32 v168, v171, v208
	v_fmac_f32_e32 v170, 0x3f7e222b, v7
	v_lshrrev_b32_e32 v56, 5, v21
	s_delay_alu instid0(VALU_DEP_4) | instskip(SKIP_3) | instid1(VALU_DEP_4)
	v_fma_f32 v211, v84, v3, -v1
	v_mul_f32_e32 v1, v79, v81
	v_or_b32_e32 v3, 16, v6
	v_dual_mul_f32 v0, v2, v83 :: v_dual_lshlrev_b32 v5, 3, v0
	v_fmac_f32_e32 v168, v169, v211
	s_delay_alu instid0(VALU_DEP_4) | instskip(NEXT) | instid1(VALU_DEP_4)
	v_fma_f32 v214, v78, v80, -v1
	v_mul_lo_u32 v1, v24, v3
	v_and_b32_e32 v2, 0xff, v4
	v_fma_f32 v213, v82, v8, -v0
	v_dual_add_f32 v167, v170, v166 :: v_dual_mul_f32 v166, v169, v208
	s_wait_loadcnt 0xc
	v_mul_f32_e32 v208, v214, v133
	v_lshlrev_b32_e32 v0, 3, v2
	s_clause 0x3
	global_load_b64 v[200:201], v77, s[0:1]
	global_load_b64 v[202:203], v124, s[0:1] offset:2048
	global_load_b64 v[204:205], v9, s[0:1] offset:4096
	global_load_b64 v[62:63], v0, s[0:1]
	v_and_b32_e32 v3, 0xff, v1
	v_lshrrev_b32_e32 v0, 5, v4
	v_lshrrev_b32_e32 v2, 13, v4
	v_or_b32_e32 v4, 32, v6
	v_or_b32_e32 v9, 0x60, v6
	v_lshrrev_b32_e32 v7, 5, v1
	v_and_b32_e32 v0, 0x7f8, v0
	v_lshrrev_b32_e32 v1, 13, v1
	v_mul_lo_u32 v4, v24, v4
	v_mul_lo_u32 v9, v24, v9
	v_and_b32_e32 v2, 0x7f8, v2
	v_lshlrev_b32_e32 v3, 3, v3
	v_and_b32_e32 v7, 0x7f8, v7
	s_clause 0x3
	global_load_b64 v[78:79], v0, s[0:1] offset:2048
	global_load_b64 v[70:71], v2, s[0:1] offset:4096
	global_load_b64 v[74:75], v3, s[0:1]
	global_load_b64 v[76:77], v7, s[0:1] offset:2048
	v_and_b32_e32 v0, 0x7f8, v1
	v_and_b32_e32 v1, 0xff, v4
	v_lshrrev_b32_e32 v3, 5, v4
	v_lshrrev_b32_e32 v4, 13, v4
	v_and_b32_e32 v14, 0xff, v9
	v_lshrrev_b32_e32 v15, 5, v9
	v_or_b32_e32 v7, 64, v6
	v_fma_f32 v169, v171, v211, -v166
	v_and_b32_e32 v4, 0x7f8, v4
	s_delay_alu instid0(VALU_DEP_4) | instskip(SKIP_3) | instid1(VALU_DEP_3)
	v_dual_mul_f32 v170, v207, v210 :: v_dual_and_b32 v15, 0x7f8, v15
	s_wait_loadcnt 0x12
	v_mul_f32_e32 v166, v147, v149
	v_dual_fmac_f32 v208, v132, v212 :: v_dual_lshlrev_b32 v1, 3, v1
	v_dual_fmac_f32 v170, v206, v213 :: v_dual_and_b32 v3, 0x7f8, v3
	v_mul_lo_u32 v7, v24, v7
	s_clause 0x3
	global_load_b64 v[84:85], v0, s[0:1] offset:4096
	global_load_b64 v[80:81], v1, s[0:1]
	global_load_b64 v[82:83], v3, s[0:1] offset:2048
	global_load_b64 v[68:69], v4, s[0:1] offset:4096
	v_or_b32_e32 v1, 0x50, v6
	v_or_b32_e32 v2, 48, v6
	v_mul_f32_e32 v149, v146, v149
	v_fma_f32 v146, v146, v148, -v166
	v_mul_f32_e32 v133, v212, v133
	v_mul_lo_u32 v1, v24, v1
	v_lshrrev_b32_e32 v8, 5, v7
	v_mul_lo_u32 v2, v24, v2
	v_and_b32_e32 v4, 0xff, v7
	v_lshrrev_b32_e32 v7, 13, v7
	v_fmac_f32_e32 v149, v147, v148
	s_wait_loadcnt 0x15
	v_dual_mul_f32 v147, v146, v145 :: v_dual_and_b32 v8, 0x7f8, v8
	v_and_b32_e32 v10, 0xff, v1
	v_lshrrev_b32_e32 v12, 5, v1
	v_or_b32_e32 v6, 0xc0, v6
	v_lshrrev_b32_e32 v3, 5, v2
	v_lshrrev_b32_e32 v1, 13, v1
	v_lshlrev_b32_e32 v10, 3, v10
	v_and_b32_e32 v12, 0x7f8, v12
	v_and_b32_e32 v7, 0x7f8, v7
	v_lshrrev_b32_e32 v9, 13, v9
	v_dual_mul_f32 v145, v149, v145 :: v_dual_and_b32 v16, 0xff, v11
	v_dual_fmac_f32 v147, v144, v149 :: v_dual_lshlrev_b32 v14, 3, v14
	v_fma_f32 v133, v132, v214, -v133
	s_wait_loadcnt 0x13
	v_mul_f32_e32 v132, v53, v157
	v_mul_lo_u32 v6, v24, v6
	v_and_b32_e32 v0, 0xff, v2
	v_dual_mul_f32 v166, v167, v208 :: v_dual_and_b32 v3, 0x7f8, v3
	v_dual_mul_f32 v148, v209, v208 :: v_dual_and_b32 v1, 0x7f8, v1
	v_and_b32_e32 v9, 0x7f8, v9
	v_dual_mul_f32 v149, v52, v157 :: v_dual_lshlrev_b32 v16, 3, v16
	v_lshrrev_b32_e32 v11, 13, v11
	v_fma_f32 v52, v52, v156, -v132
	v_fma_f32 v144, v144, v146, -v145
	v_dual_mul_f32 v132, v199, v147 :: v_dual_and_b32 v19, 0xff, v13
	v_lshrrev_b32_e32 v13, 13, v13
	s_wait_loadcnt 0x10
	v_dual_mul_f32 v145, v152, v155 :: v_dual_and_b32 v18, 0x7f8, v18
	v_fmac_f32_e32 v149, v53, v156
	v_dual_fmac_f32 v166, v209, v133 :: v_dual_and_b32 v11, 0x7f8, v11
	v_dual_mul_f32 v53, v52, v151 :: v_dual_and_b32 v20, 0x7f8, v20
	v_dual_mul_f32 v146, v198, v147 :: v_dual_and_b32 v13, 0x7f8, v13
	v_lshlrev_b32_e32 v22, 3, v22
	v_lshrrev_b32_e32 v58, 5, v23
	v_dual_fmac_f32 v145, v153, v154 :: v_dual_and_b32 v56, 0x7f8, v56
	v_lshrrev_b32_e32 v60, 5, v6
	v_fma_f32 v167, v167, v133, -v148
	v_dual_mul_f32 v133, v153, v155 :: v_dual_and_b32 v54, 0x7f8, v54
	v_dual_mul_f32 v147, v149, v151 :: v_dual_and_b32 v58, 0x7f8, v58
	s_delay_alu instid0(VALU_DEP_4)
	v_dual_fmac_f32 v53, v150, v149 :: v_dual_and_b32 v60, 0x7f8, v60
	s_wait_loadcnt 0xd
	v_mul_f32_e32 v149, v162, v165
	v_dual_fmac_f32 v132, v198, v144 :: v_dual_lshlrev_b32 v19, 3, v19
	v_fma_f32 v148, v152, v154, -v133
	v_fma_f32 v133, v199, v144, -v146
	v_mul_f32_e32 v144, v145, v161
	v_mul_f32_e32 v146, v163, v165
	v_add_f32_e32 v151, v196, v189
	v_and_b32_e32 v59, 0xff, v6
	v_lshrrev_b32_e32 v6, 13, v6
	v_lshrrev_b32_e32 v17, 13, v17
	v_fma_f32 v52, v150, v52, -v147
	v_mul_f32_e32 v150, v151, v53
	s_delay_alu instid0(VALU_DEP_4)
	v_dual_mul_f32 v147, v148, v161 :: v_dual_and_b32 v6, 0x7f8, v6
	v_fma_f32 v152, v160, v148, -v144
	v_fma_f32 v144, v162, v164, -v146
	v_fmac_f32_e32 v149, v163, v164
	v_and_b32_e32 v17, 0x7f8, v17
	v_and_b32_e32 v55, 0xff, v21
	v_fmac_f32_e32 v147, v160, v145
	s_wait_loadcnt 0xc
	v_mul_f32_e32 v145, v144, v159
	v_dual_mul_f32 v148, v149, v159 :: v_dual_lshlrev_b32 v57, 3, v57
	v_fmac_f32_e32 v150, v195, v52
	v_lshrrev_b32_e32 v21, 13, v21
	v_lshrrev_b32_e32 v2, 13, v2
	s_delay_alu instid0(VALU_DEP_4)
	v_fma_f32 v154, v158, v144, -v148
	v_fmac_f32_e32 v145, v158, v149
	v_mul_f32_e32 v149, v195, v53
	v_lshrrev_b32_e32 v23, 13, v23
	v_lshlrev_b32_e32 v0, 3, v0
	v_dual_add_f32 v144, v197, v188 :: v_dual_lshlrev_b32 v55, 3, v55
	s_delay_alu instid0(VALU_DEP_4) | instskip(SKIP_3) | instid1(VALU_DEP_2)
	v_fma_f32 v151, v151, v52, -v149
	v_and_b32_e32 v2, 0x7f8, v2
	v_dual_mul_f32 v171, v206, v210 :: v_dual_lshlrev_b32 v4, 3, v4
	v_add_f32_e32 v53, v193, v187
	v_fma_f32 v171, v207, v213, -v171
	s_wait_loadcnt 0xa
	v_mul_f32_e32 v146, v201, v203
	v_mul_f32_e32 v153, v200, v203
	s_delay_alu instid0(VALU_DEP_2) | instskip(NEXT) | instid1(VALU_DEP_2)
	v_fma_f32 v146, v200, v202, -v146
	v_fmac_f32_e32 v153, v201, v202
	v_lshlrev_b32_e32 v59, 3, v59
	s_wait_loadcnt 0x9
	s_delay_alu instid0(VALU_DEP_3) | instskip(NEXT) | instid1(VALU_DEP_3)
	v_mul_f32_e32 v149, v146, v205
	v_mul_f32_e32 v52, v153, v205
	s_delay_alu instid0(VALU_DEP_2) | instskip(NEXT) | instid1(VALU_DEP_2)
	v_fmac_f32_e32 v149, v204, v153
	v_fma_f32 v52, v204, v146, -v52
	s_delay_alu instid0(VALU_DEP_2) | instskip(SKIP_1) | instid1(VALU_DEP_2)
	v_mul_f32_e32 v146, v191, v149
	v_mul_f32_e32 v153, v190, v149
	v_dual_fmac_f32 v146, v190, v52 :: v_dual_and_b32 v21, 0x7f8, v21
	v_mul_f32_e32 v148, v194, v147
	v_and_b32_e32 v23, 0x7f8, v23
	v_mul_f32_e32 v147, v144, v147
	s_delay_alu instid0(VALU_DEP_3)
	v_fmac_f32_e32 v148, v144, v152
	s_clause 0x1d
	global_load_b64 v[128:129], v0, s[0:1]
	global_load_b64 v[130:131], v3, s[0:1] offset:2048
	global_load_b64 v[126:127], v2, s[0:1] offset:4096
	global_load_b64 v[122:123], v4, s[0:1]
	global_load_b64 v[124:125], v8, s[0:1] offset:2048
	global_load_b64 v[116:117], v7, s[0:1] offset:4096
	;; [unrolled: 3-line block ×10, first 2 shown]
	s_clause 0x5
	global_load_b128 v[8:11], v5, s[14:15] offset:160
	global_load_b128 v[12:15], v5, s[14:15] offset:144
	;; [unrolled: 1-line block ×6, first 2 shown]
	v_mul_f32_e32 v144, v53, v145
	v_fma_f32 v149, v194, v152, -v147
	v_fma_f32 v147, v191, v52, -v153
	s_delay_alu instid0(VALU_DEP_3) | instskip(SKIP_1) | instid1(VALU_DEP_1)
	v_fmac_f32_e32 v144, v192, v154
	v_mul_f32_e32 v145, v192, v145
	v_fma_f32 v145, v53, v154, -v145
	s_wait_alu 0xfffe
	s_cbranch_vccnz .LBB0_18
; %bb.17:
	v_mad_co_u64_u32 v[52:53], null, s6, v174, 0
	v_mad_co_u64_u32 v[152:153], null, s4, v172, 0
	;; [unrolled: 1-line block ×3, first 2 shown]
	s_lshl_b64 s[0:1], s[10:11], 3
	v_mad_co_u64_u32 v[164:165], null, s4, v183, 0
	s_wait_loadcnt 0x6
	s_delay_alu instid0(VALU_DEP_4) | instskip(SKIP_1) | instid1(VALU_DEP_4)
	v_mad_co_u64_u32 v[156:157], null, s7, v174, v[53:54]
	v_mad_co_u64_u32 v[157:158], null, s4, v176, 0
	;; [unrolled: 1-line block ×4, first 2 shown]
	s_delay_alu instid0(VALU_DEP_4) | instskip(SKIP_1) | instid1(VALU_DEP_4)
	v_mov_b32_e32 v53, v156
	s_add_nc_u64 s[0:1], s[8:9], s[0:1]
	v_mov_b32_e32 v156, v158
	s_and_b32 s16, s2, exec_lo
	s_delay_alu instid0(VALU_DEP_4) | instskip(SKIP_1) | instid1(VALU_DEP_3)
	v_mov_b32_e32 v153, v159
	v_lshlrev_b64_e32 v[52:53], 3, v[52:53]
	v_mad_co_u64_u32 v[158:159], null, s5, v175, v[155:156]
	v_mad_co_u64_u32 v[162:163], null, s5, v176, v[156:157]
	v_mov_b32_e32 v156, v161
	v_lshlrev_b64_e32 v[152:153], 3, v[152:153]
	v_add_co_u32 v52, vcc_lo, s0, v52
	v_mov_b32_e32 v155, v158
	s_wait_alu 0xfffd
	v_add_co_ci_u32_e32 v53, vcc_lo, s1, v53, vcc_lo
	v_mov_b32_e32 v158, v162
	v_add_co_u32 v152, vcc_lo, v52, v152
	v_lshlrev_b64_e32 v[154:155], 3, v[154:155]
	s_wait_alu 0xfffd
	v_add_co_ci_u32_e32 v153, vcc_lo, v53, v153, vcc_lo
	global_store_b64 v[152:153], v[140:141], off
	v_add_co_u32 v152, vcc_lo, v52, v154
	s_wait_alu 0xfffd
	v_add_co_ci_u32_e32 v153, vcc_lo, v53, v155, vcc_lo
	v_lshlrev_b64_e32 v[154:155], 3, v[157:158]
	v_mad_co_u64_u32 v[156:157], null, s5, v178, v[156:157]
	global_store_b64 v[152:153], v[142:143], off
	v_mad_co_u64_u32 v[152:153], null, s4, v177, 0
	v_add_co_u32 v154, vcc_lo, v52, v154
	s_wait_alu 0xfffd
	v_add_co_ci_u32_e32 v155, vcc_lo, v53, v155, vcc_lo
	v_mov_b32_e32 v161, v156
	v_mad_co_u64_u32 v[156:157], null, s4, v179, 0
	global_store_b64 v[154:155], v[138:139], off
	v_lshlrev_b64_e32 v[154:155], 3, v[160:161]
	s_delay_alu instid0(VALU_DEP_1)
	v_mad_co_u64_u32 v[158:159], null, s5, v177, v[153:154]
	v_mov_b32_e32 v153, v157
	v_add_co_u32 v154, vcc_lo, v52, v154
	v_mad_co_u64_u32 v[159:160], null, s4, v180, 0
	s_wait_alu 0xfffd
	v_add_co_ci_u32_e32 v155, vcc_lo, v53, v155, vcc_lo
	s_delay_alu instid0(VALU_DEP_3) | instskip(SKIP_4) | instid1(VALU_DEP_2)
	v_mad_co_u64_u32 v[161:162], null, s5, v179, v[153:154]
	v_mad_co_u64_u32 v[162:163], null, s4, v181, 0
	global_store_b64 v[154:155], v[134:135], off
	v_dual_mov_b32 v154, v160 :: v_dual_mov_b32 v153, v158
                                        ; kill: def $vgpr155 killed $sgpr0 killed $exec
	v_mov_b32_e32 v157, v161
	v_mad_co_u64_u32 v[154:155], null, s5, v180, v[154:155]
	s_delay_alu instid0(VALU_DEP_3) | instskip(NEXT) | instid1(VALU_DEP_3)
	v_lshlrev_b64_e32 v[152:153], 3, v[152:153]
	v_lshlrev_b64_e32 v[156:157], 3, v[156:157]
	v_mov_b32_e32 v155, v163
	s_delay_alu instid0(VALU_DEP_3) | instskip(SKIP_1) | instid1(VALU_DEP_3)
	v_add_co_u32 v152, vcc_lo, v52, v152
	v_mov_b32_e32 v160, v154
	v_mad_co_u64_u32 v[154:155], null, s5, v181, v[155:156]
	s_wait_alu 0xfffd
	v_add_co_ci_u32_e32 v153, vcc_lo, v53, v153, vcc_lo
	v_mov_b32_e32 v155, v165
	v_add_co_u32 v156, vcc_lo, v52, v156
	s_wait_alu 0xfffd
	v_add_co_ci_u32_e32 v157, vcc_lo, v53, v157, vcc_lo
	v_mov_b32_e32 v163, v154
	s_delay_alu instid0(VALU_DEP_3)
	v_mad_co_u64_u32 v[154:155], null, s5, v183, v[155:156]
	global_store_b64 v[152:153], v[136:137], off
	v_lshlrev_b64_e32 v[152:153], 3, v[159:160]
	global_store_b64 v[156:157], v[168:169], off
	v_lshlrev_b64_e32 v[155:156], 3, v[162:163]
	v_mad_co_u64_u32 v[158:159], null, s4, v184, 0
	v_mov_b32_e32 v165, v154
	v_add_co_u32 v152, vcc_lo, v52, v152
	s_wait_alu 0xfffd
	v_add_co_ci_u32_e32 v153, vcc_lo, v53, v153, vcc_lo
	v_add_co_u32 v154, vcc_lo, v52, v155
	s_wait_alu 0xfffd
	v_add_co_ci_u32_e32 v155, vcc_lo, v53, v156, vcc_lo
	v_lshlrev_b64_e32 v[156:157], 3, v[164:165]
	global_store_b64 v[152:153], v[170:171], off
	v_mad_co_u64_u32 v[152:153], null, s4, v182, 0
	global_store_b64 v[154:155], v[166:167], off
	v_mad_co_u64_u32 v[162:163], null, s4, v186, 0
	v_add_co_u32 v154, vcc_lo, v52, v156
	v_mov_b32_e32 v156, v159
	s_wait_alu 0xfffd
	v_add_co_ci_u32_e32 v155, vcc_lo, v53, v157, vcc_lo
	s_delay_alu instid0(VALU_DEP_3)
	v_mad_co_u64_u32 v[159:160], null, s5, v182, v[153:154]
	v_mad_co_u64_u32 v[160:161], null, s4, v185, 0
	v_mad_co_u64_u32 v[156:157], null, s5, v184, v[156:157]
	global_store_b64 v[154:155], v[132:133], off
	v_mov_b32_e32 v155, v163
	v_dual_mov_b32 v153, v159 :: v_dual_mov_b32 v154, v161
	v_mov_b32_e32 v159, v156
	s_delay_alu instid0(VALU_DEP_2) | instskip(NEXT) | instid1(VALU_DEP_3)
	v_lshlrev_b64_e32 v[152:153], 3, v[152:153]
	v_mad_co_u64_u32 v[156:157], null, s5, v185, v[154:155]
	s_delay_alu instid0(VALU_DEP_3) | instskip(NEXT) | instid1(VALU_DEP_3)
	v_lshlrev_b64_e32 v[157:158], 3, v[158:159]
	v_add_co_u32 v152, vcc_lo, v52, v152
	s_wait_alu 0xfffd
	s_delay_alu instid0(VALU_DEP_4) | instskip(NEXT) | instid1(VALU_DEP_4)
	v_add_co_ci_u32_e32 v153, vcc_lo, v53, v153, vcc_lo
	v_mad_co_u64_u32 v[154:155], null, s5, v186, v[155:156]
	v_mov_b32_e32 v161, v156
	v_add_co_u32 v155, vcc_lo, v52, v157
	s_wait_alu 0xfffd
	v_add_co_ci_u32_e32 v156, vcc_lo, v53, v158, vcc_lo
	global_store_b64 v[152:153], v[150:151], off
	v_mov_b32_e32 v163, v154
	v_lshlrev_b64_e32 v[152:153], 3, v[160:161]
	global_store_b64 v[155:156], v[148:149], off
	v_lshlrev_b64_e32 v[154:155], 3, v[162:163]
	v_add_co_u32 v152, vcc_lo, v52, v152
	s_wait_alu 0xfffd
	v_add_co_ci_u32_e32 v153, vcc_lo, v53, v153, vcc_lo
	s_delay_alu instid0(VALU_DEP_3)
	v_add_co_u32 v154, vcc_lo, v52, v154
	s_wait_alu 0xfffd
	v_add_co_ci_u32_e32 v155, vcc_lo, v53, v155, vcc_lo
	s_clause 0x1
	global_store_b64 v[152:153], v[144:145], off
	global_store_b64 v[154:155], v[146:147], off
	s_cbranch_execz .LBB0_19
	s_branch .LBB0_22
.LBB0_18:
                                        ; implicit-def: $vgpr52_vgpr53
.LBB0_19:
	s_mov_b32 s0, exec_lo
                                        ; implicit-def: $vgpr52_vgpr53
	v_cmpx_gt_u64_e64 s[12:13], v[24:25]
	s_cbranch_execz .LBB0_21
; %bb.20:
	v_mad_co_u64_u32 v[24:25], null, s6, v174, 0
	v_mad_co_u64_u32 v[52:53], null, s4, v172, 0
	;; [unrolled: 1-line block ×3, first 2 shown]
	s_wait_alu 0xfffe
	s_and_not1_b32 s1, s16, exec_lo
	s_and_b32 s2, s2, exec_lo
	s_delay_alu instid0(VALU_DEP_3) | instskip(SKIP_4) | instid1(VALU_DEP_4)
	v_mad_co_u64_u32 v[154:155], null, s7, v174, v[25:26]
	v_mad_co_u64_u32 v[155:156], null, s4, v176, 0
	s_wait_loadcnt 0x6
	v_mad_co_u64_u32 v[157:158], null, s5, v172, v[53:54]
	v_mad_co_u64_u32 v[158:159], null, s4, v178, 0
	v_mov_b32_e32 v25, v154
	s_lshl_b64 s[6:7], s[10:11], 3
	s_delay_alu instid0(VALU_DEP_4) | instskip(SKIP_2) | instid1(VALU_DEP_4)
	v_mov_b32_e32 v154, v156
	s_wait_alu 0xfffe
	s_add_nc_u64 s[6:7], s[8:9], s[6:7]
	v_mov_b32_e32 v53, v157
	v_lshlrev_b64_e32 v[24:25], 3, v[24:25]
	s_or_b32 s16, s1, s2
	v_mad_co_u64_u32 v[156:157], null, s5, v175, v[153:154]
	v_mad_co_u64_u32 v[160:161], null, s5, v176, v[154:155]
	v_mov_b32_e32 v154, v159
	v_lshlrev_b64_e32 v[161:162], 3, v[52:53]
	s_wait_alu 0xfffe
	v_add_co_u32 v52, vcc_lo, s6, v24
	v_mov_b32_e32 v153, v156
	s_wait_alu 0xfffd
	v_add_co_ci_u32_e32 v53, vcc_lo, s7, v25, vcc_lo
	v_mov_b32_e32 v156, v160
	v_add_co_u32 v24, vcc_lo, v52, v161
	v_lshlrev_b64_e32 v[152:153], 3, v[152:153]
	s_wait_alu 0xfffd
	v_add_co_ci_u32_e32 v25, vcc_lo, v53, v162, vcc_lo
	global_store_b64 v[24:25], v[140:141], off
	v_add_co_u32 v24, vcc_lo, v52, v152
	s_wait_alu 0xfffd
	v_add_co_ci_u32_e32 v25, vcc_lo, v53, v153, vcc_lo
	v_lshlrev_b64_e32 v[140:141], 3, v[155:156]
	v_mad_co_u64_u32 v[152:153], null, s5, v178, v[154:155]
	global_store_b64 v[24:25], v[142:143], off
	v_mad_co_u64_u32 v[24:25], null, s4, v177, 0
	v_add_co_u32 v140, vcc_lo, v52, v140
	s_wait_alu 0xfffd
	v_add_co_ci_u32_e32 v141, vcc_lo, v53, v141, vcc_lo
	v_mov_b32_e32 v159, v152
	v_mad_co_u64_u32 v[142:143], null, s4, v179, 0
	global_store_b64 v[140:141], v[138:139], off
	v_mad_co_u64_u32 v[140:141], null, s5, v177, v[25:26]
	v_lshlrev_b64_e32 v[138:139], 3, v[158:159]
	v_mad_co_u64_u32 v[152:153], null, s4, v180, 0
	v_mov_b32_e32 v25, v143
	s_delay_alu instid0(VALU_DEP_3) | instskip(SKIP_1) | instid1(VALU_DEP_4)
	v_add_co_u32 v138, vcc_lo, v52, v138
	s_wait_alu 0xfffd
	v_add_co_ci_u32_e32 v139, vcc_lo, v53, v139, vcc_lo
	s_delay_alu instid0(VALU_DEP_3)
	v_mad_co_u64_u32 v[154:155], null, s5, v179, v[25:26]
	v_mov_b32_e32 v25, v140
	v_mad_co_u64_u32 v[140:141], null, s4, v181, 0
	global_store_b64 v[138:139], v[134:135], off
	v_mov_b32_e32 v134, v153
	v_lshlrev_b64_e32 v[24:25], 3, v[24:25]
                                        ; kill: def $vgpr135 killed $sgpr0 killed $exec
	v_mov_b32_e32 v143, v154
	v_mad_co_u64_u32 v[138:139], null, s4, v183, 0
	s_delay_alu instid0(VALU_DEP_4)
	v_mad_co_u64_u32 v[134:135], null, s5, v180, v[134:135]
	v_mov_b32_e32 v135, v141
	v_add_co_u32 v24, vcc_lo, v52, v24
	v_lshlrev_b64_e32 v[141:142], 3, v[142:143]
	s_wait_alu 0xfffd
	v_add_co_ci_u32_e32 v25, vcc_lo, v53, v25, vcc_lo
	v_mov_b32_e32 v153, v134
	v_mad_co_u64_u32 v[134:135], null, s5, v181, v[135:136]
	global_store_b64 v[24:25], v[136:137], off
	v_mov_b32_e32 v135, v139
	v_add_co_u32 v136, vcc_lo, v52, v141
	v_lshlrev_b64_e32 v[24:25], 3, v[152:153]
	s_wait_alu 0xfffd
	v_add_co_ci_u32_e32 v137, vcc_lo, v53, v142, vcc_lo
	v_mov_b32_e32 v141, v134
	v_mad_co_u64_u32 v[134:135], null, s5, v183, v[135:136]
	global_store_b64 v[136:137], v[168:169], off
	v_add_co_u32 v24, vcc_lo, v52, v24
	v_lshlrev_b64_e32 v[135:136], 3, v[140:141]
	s_wait_alu 0xfffd
	v_add_co_ci_u32_e32 v25, vcc_lo, v53, v25, vcc_lo
	v_mov_b32_e32 v139, v134
	v_mad_co_u64_u32 v[142:143], null, s4, v186, 0
	s_delay_alu instid0(VALU_DEP_4)
	v_add_co_u32 v134, vcc_lo, v52, v135
	global_store_b64 v[24:25], v[170:171], off
	v_mad_co_u64_u32 v[24:25], null, s4, v182, 0
	s_wait_alu 0xfffd
	v_add_co_ci_u32_e32 v135, vcc_lo, v53, v136, vcc_lo
	v_lshlrev_b64_e32 v[136:137], 3, v[138:139]
	v_mad_co_u64_u32 v[138:139], null, s4, v184, 0
	global_store_b64 v[134:135], v[166:167], off
	v_add_co_u32 v134, vcc_lo, v52, v136
	s_wait_alu 0xfffd
	v_add_co_ci_u32_e32 v135, vcc_lo, v53, v137, vcc_lo
	v_mov_b32_e32 v136, v139
	v_mad_co_u64_u32 v[139:140], null, s5, v182, v[25:26]
	v_mad_co_u64_u32 v[140:141], null, s4, v185, 0
	s_delay_alu instid0(VALU_DEP_3) | instskip(SKIP_4) | instid1(VALU_DEP_2)
	v_mad_co_u64_u32 v[136:137], null, s5, v184, v[136:137]
	global_store_b64 v[134:135], v[132:133], off
	v_mov_b32_e32 v133, v143
	v_dual_mov_b32 v25, v139 :: v_dual_mov_b32 v132, v141
	v_mov_b32_e32 v139, v136
	v_lshlrev_b64_e32 v[24:25], 3, v[24:25]
	s_delay_alu instid0(VALU_DEP_3) | instskip(NEXT) | instid1(VALU_DEP_3)
	v_mad_co_u64_u32 v[134:135], null, s5, v185, v[132:133]
	v_lshlrev_b64_e32 v[135:136], 3, v[138:139]
	s_delay_alu instid0(VALU_DEP_3) | instskip(SKIP_1) | instid1(VALU_DEP_4)
	v_add_co_u32 v24, vcc_lo, v52, v24
	s_wait_alu 0xfffd
	v_add_co_ci_u32_e32 v25, vcc_lo, v53, v25, vcc_lo
	s_delay_alu instid0(VALU_DEP_4)
	v_mad_co_u64_u32 v[132:133], null, s5, v186, v[133:134]
	v_mov_b32_e32 v141, v134
	v_add_co_u32 v133, vcc_lo, v52, v135
	s_wait_alu 0xfffd
	v_add_co_ci_u32_e32 v134, vcc_lo, v53, v136, vcc_lo
	global_store_b64 v[24:25], v[150:151], off
	v_mov_b32_e32 v143, v132
	v_lshlrev_b64_e32 v[24:25], 3, v[140:141]
	global_store_b64 v[133:134], v[148:149], off
	v_lshlrev_b64_e32 v[132:133], 3, v[142:143]
	v_add_co_u32 v24, vcc_lo, v52, v24
	s_wait_alu 0xfffd
	v_add_co_ci_u32_e32 v25, vcc_lo, v53, v25, vcc_lo
	s_delay_alu instid0(VALU_DEP_3)
	v_add_co_u32 v132, vcc_lo, v52, v132
	s_wait_alu 0xfffd
	v_add_co_ci_u32_e32 v133, vcc_lo, v53, v133, vcc_lo
	s_clause 0x1
	global_store_b64 v[24:25], v[144:145], off
	global_store_b64 v[132:133], v[146:147], off
.LBB0_21:
	s_wait_alu 0xfffe
	s_or_b32 exec_lo, exec_lo, s0
.LBB0_22:
	s_wait_alu 0xfffe
	s_and_saveexec_b32 s0, s16
	s_cbranch_execnz .LBB0_24
; %bb.23:
	s_nop 0
	s_sendmsg sendmsg(MSG_DEALLOC_VGPRS)
	s_endpgm
.LBB0_24:
	s_wait_loadcnt 0x2
	v_mul_f32_e32 v24, v35, v21
	v_mul_f32_e32 v21, v34, v21
	;; [unrolled: 1-line block ×4, first 2 shown]
	s_delay_alu instid0(VALU_DEP_4) | instskip(NEXT) | instid1(VALU_DEP_3)
	v_fmac_f32_e32 v24, v34, v20
	v_dual_mul_f32 v132, v47, v17 :: v_dual_fmac_f32 v25, v30, v22
	v_fma_f32 v20, v35, v20, -v21
	s_delay_alu instid0(VALU_DEP_4) | instskip(SKIP_1) | instid1(VALU_DEP_4)
	v_fma_f32 v21, v31, v22, -v23
	v_dual_mul_f32 v22, v46, v17 :: v_dual_mul_f32 v23, v49, v19
	v_dual_fmac_f32 v132, v46, v16 :: v_dual_mul_f32 v19, v48, v19
	v_mul_f32_e32 v17, v51, v13
	s_delay_alu instid0(VALU_DEP_3) | instskip(NEXT) | instid1(VALU_DEP_4)
	v_fma_f32 v22, v47, v16, -v22
	v_dual_mul_f32 v16, v50, v13 :: v_dual_fmac_f32 v23, v48, v18
	s_delay_alu instid0(VALU_DEP_4)
	v_fma_f32 v18, v49, v18, -v19
	v_mul_f32_e32 v13, v41, v15
	v_mul_f32_e32 v15, v40, v15
	v_add_f32_e32 v19, v26, v24
	v_add_f32_e32 v30, v27, v20
	v_fmac_f32_e32 v17, v50, v12
	v_fmac_f32_e32 v13, v40, v14
	v_fma_f32 v14, v41, v14, -v15
	v_add_f32_e32 v15, v19, v25
	v_add_f32_e32 v19, v30, v21
	v_fma_f32 v16, v51, v12, -v16
	v_mul_f32_e32 v12, v45, v9
	s_delay_alu instid0(VALU_DEP_4) | instskip(NEXT) | instid1(VALU_DEP_4)
	v_dual_mul_f32 v30, v44, v9 :: v_dual_add_f32 v15, v15, v132
	v_add_f32_e32 v19, v19, v22
	v_mul_f32_e32 v9, v43, v11
	s_delay_alu instid0(VALU_DEP_4) | instskip(NEXT) | instid1(VALU_DEP_4)
	v_dual_mul_f32 v11, v42, v11 :: v_dual_fmac_f32 v12, v44, v8
	v_add_f32_e32 v15, v15, v23
	s_delay_alu instid0(VALU_DEP_4) | instskip(NEXT) | instid1(VALU_DEP_4)
	v_add_f32_e32 v19, v19, v18
	v_fmac_f32_e32 v9, v42, v10
	s_delay_alu instid0(VALU_DEP_4)
	v_fma_f32 v10, v43, v10, -v11
	v_fma_f32 v8, v45, v8, -v30
	v_add_f32_e32 v11, v15, v17
	v_add_f32_e32 v15, v19, v16
	s_wait_loadcnt 0x0
	v_mul_f32_e32 v19, v37, v7
	v_dual_mul_f32 v7, v36, v7 :: v_dual_mul_f32 v30, v39, v5
	v_mul_f32_e32 v5, v38, v5
	s_delay_alu instid0(VALU_DEP_3) | instskip(NEXT) | instid1(VALU_DEP_3)
	v_fmac_f32_e32 v19, v36, v6
	v_fma_f32 v6, v37, v6, -v7
	v_mul_f32_e32 v7, v32, v3
	v_dual_mul_f32 v3, v33, v3 :: v_dual_fmac_f32 v30, v38, v4
	v_fma_f32 v4, v39, v4, -v5
	s_delay_alu instid0(VALU_DEP_3) | instskip(NEXT) | instid1(VALU_DEP_3)
	v_fma_f32 v7, v33, v2, -v7
	v_fmac_f32_e32 v3, v32, v2
	s_delay_alu instid0(VALU_DEP_2) | instskip(SKIP_1) | instid1(VALU_DEP_2)
	v_sub_f32_e32 v2, v20, v7
	v_add_f32_e32 v20, v20, v7
	v_mul_f32_e32 v38, 0xbf6f5d39, v2
	s_delay_alu instid0(VALU_DEP_2) | instskip(SKIP_3) | instid1(VALU_DEP_4)
	v_dual_mul_f32 v36, 0x3df6dbef, v20 :: v_dual_add_f32 v5, v11, v13
	v_add_f32_e32 v11, v15, v14
	v_dual_mul_f32 v15, v29, v1 :: v_dual_mul_f32 v42, 0xbf29c268, v2
	v_mul_f32_e32 v1, v28, v1
	v_add_f32_e32 v5, v5, v12
	v_mul_f32_e32 v44, 0xbf3f9e67, v20
	s_delay_alu instid0(VALU_DEP_4) | instskip(SKIP_4) | instid1(VALU_DEP_3)
	v_fmac_f32_e32 v15, v28, v0
	v_mul_f32_e32 v32, 0x3f62ad3f, v20
	v_fma_f32 v28, v29, v0, -v1
	v_add_f32_e32 v5, v5, v9
	v_mul_f32_e32 v41, 0xbeb58ec6, v20
	v_sub_f32_e32 v48, v21, v28
	s_delay_alu instid0(VALU_DEP_3) | instskip(SKIP_1) | instid1(VALU_DEP_2)
	v_add_f32_e32 v5, v5, v30
	v_add_f32_e32 v21, v21, v28
	v_dual_mul_f32 v51, 0xbf52af12, v48 :: v_dual_add_f32 v0, v5, v19
	v_add_f32_e32 v5, v24, v3
	v_sub_f32_e32 v24, v24, v3
	s_delay_alu instid0(VALU_DEP_2) | instskip(NEXT) | instid1(VALU_DEP_2)
	v_fmamk_f32 v40, v5, 0xbeb58ec6, v38
	v_fmamk_f32 v46, v24, 0x3f29c268, v44
	v_fmac_f32_e32 v44, 0xbf29c268, v24
	v_fmamk_f32 v39, v24, 0x3f7e222b, v36
	v_fmac_f32_e32 v36, 0xbf7e222b, v24
	v_add_f32_e32 v40, v26, v40
	v_add_f32_e32 v11, v11, v8
	v_add_f32_e32 v46, v27, v46
	v_add_f32_e32 v50, v25, v15
	v_add_f32_e32 v0, v0, v15
	v_sub_f32_e32 v15, v25, v15
	v_add_f32_e32 v11, v11, v10
	v_dual_mul_f32 v35, 0xbf7e222b, v2 :: v_dual_add_f32 v36, v27, v36
	v_add_f32_e32 v39, v27, v39
	v_add_f32_e32 v44, v27, v44
	s_delay_alu instid0(VALU_DEP_4) | instskip(NEXT) | instid1(VALU_DEP_1)
	v_add_f32_e32 v11, v11, v4
	v_add_f32_e32 v1, v11, v6
	v_mul_f32_e32 v11, 0xbeedf032, v2
	s_delay_alu instid0(VALU_DEP_2) | instskip(SKIP_1) | instid1(VALU_DEP_2)
	v_add_f32_e32 v29, v1, v28
	v_add_f32_e32 v1, v0, v3
	v_dual_add_f32 v0, v29, v7 :: v_dual_mul_f32 v7, 0xbf52af12, v2
	v_mul_f32_e32 v2, 0xbe750f2a, v2
	v_fmamk_f32 v29, v24, 0x3eedf032, v32
	v_fmac_f32_e32 v32, 0xbeedf032, v24
	s_delay_alu instid0(VALU_DEP_3) | instskip(SKIP_1) | instid1(VALU_DEP_2)
	v_fmamk_f32 v47, v5, 0xbf788fa5, v2
	v_fma_f32 v2, 0xbf788fa5, v5, -v2
	v_dual_add_f32 v32, v27, v32 :: v_dual_add_f32 v47, v26, v47
	s_delay_alu instid0(VALU_DEP_2)
	v_dual_add_f32 v2, v26, v2 :: v_dual_fmamk_f32 v31, v5, 0x3f62ad3f, v11
	v_fmamk_f32 v43, v24, 0x3f6f5d39, v41
	v_fmamk_f32 v45, v5, 0xbf3f9e67, v42
	v_fmac_f32_e32 v41, 0xbf6f5d39, v24
	v_fmamk_f32 v33, v5, 0x3f116cb1, v7
	v_add_f32_e32 v3, v26, v31
	v_add_f32_e32 v43, v27, v43
	v_mul_f32_e32 v31, 0x3f116cb1, v20
	v_dual_mul_f32 v20, 0xbf788fa5, v20 :: v_dual_add_f32 v45, v26, v45
	v_fma_f32 v7, 0x3f116cb1, v5, -v7
	v_fmamk_f32 v37, v5, 0x3df6dbef, v35
	s_delay_alu instid0(VALU_DEP_4)
	v_fmamk_f32 v34, v24, 0x3f52af12, v31
	v_fmac_f32_e32 v31, 0xbf52af12, v24
	v_fmamk_f32 v49, v24, 0x3e750f2a, v20
	v_fmac_f32_e32 v20, 0xbe750f2a, v24
	v_mul_f32_e32 v24, 0x3f116cb1, v21
	v_fma_f32 v35, 0x3df6dbef, v5, -v35
	v_fma_f32 v38, 0xbeb58ec6, v5, -v38
	;; [unrolled: 1-line block ×3, first 2 shown]
	v_add_f32_e32 v20, v27, v20
	v_fma_f32 v11, 0x3f62ad3f, v5, -v11
	v_fmamk_f32 v25, v15, 0x3f52af12, v24
	v_dual_fmac_f32 v24, 0xbf52af12, v15 :: v_dual_add_f32 v33, v26, v33
	s_delay_alu instid0(VALU_DEP_3)
	v_dual_add_f32 v34, v27, v34 :: v_dual_add_f32 v11, v26, v11
	v_add_f32_e32 v7, v26, v7
	v_add_f32_e32 v31, v27, v31
	;; [unrolled: 1-line block ×4, first 2 shown]
	v_dual_add_f32 v38, v26, v38 :: v_dual_add_f32 v41, v27, v41
	v_dual_add_f32 v42, v26, v42 :: v_dual_add_f32 v49, v27, v49
	v_fmamk_f32 v5, v50, 0x3f116cb1, v51
	v_fma_f32 v26, 0x3f116cb1, v50, -v51
	v_add_f32_e32 v24, v24, v32
	v_mul_f32_e32 v32, 0xbf788fa5, v21
	v_add_f32_e32 v29, v27, v29
	v_mul_f32_e32 v27, 0xbeb58ec6, v21
	s_delay_alu instid0(VALU_DEP_1) | instskip(SKIP_2) | instid1(VALU_DEP_3)
	v_dual_add_f32 v11, v26, v11 :: v_dual_fmamk_f32 v26, v15, 0x3f6f5d39, v27
	v_add_f32_e32 v3, v5, v3
	v_mul_f32_e32 v5, 0xbf6f5d39, v48
	v_dual_fmac_f32 v27, 0xbf6f5d39, v15 :: v_dual_add_f32 v26, v26, v34
	s_delay_alu instid0(VALU_DEP_2) | instskip(SKIP_1) | instid1(VALU_DEP_1)
	v_fmamk_f32 v28, v50, 0xbeb58ec6, v5
	v_fma_f32 v5, 0xbeb58ec6, v50, -v5
	v_dual_add_f32 v28, v28, v33 :: v_dual_add_f32 v5, v5, v7
	s_delay_alu instid0(VALU_DEP_4) | instskip(SKIP_4) | instid1(VALU_DEP_2)
	v_add_f32_e32 v7, v27, v31
	v_fmamk_f32 v31, v15, 0x3e750f2a, v32
	v_dual_fmac_f32 v32, 0xbe750f2a, v15 :: v_dual_add_f32 v25, v25, v29
	v_mul_f32_e32 v29, 0xbe750f2a, v48
	v_mul_f32_e32 v27, 0x3f29c268, v48
	v_dual_add_f32 v32, v32, v36 :: v_dual_fmamk_f32 v33, v50, 0xbf788fa5, v29
	v_fma_f32 v29, 0xbf788fa5, v50, -v29
	s_delay_alu instid0(VALU_DEP_3) | instskip(SKIP_1) | instid1(VALU_DEP_3)
	v_fmamk_f32 v34, v50, 0xbf3f9e67, v27
	v_fma_f32 v27, 0xbf3f9e67, v50, -v27
	v_add_f32_e32 v29, v29, v35
	v_mul_f32_e32 v35, 0x3f7e222b, v48
	s_delay_alu instid0(VALU_DEP_3) | instskip(NEXT) | instid1(VALU_DEP_2)
	v_dual_add_f32 v34, v34, v40 :: v_dual_add_f32 v27, v27, v38
	v_fmamk_f32 v40, v50, 0x3df6dbef, v35
	v_fma_f32 v35, 0x3df6dbef, v50, -v35
	s_delay_alu instid0(VALU_DEP_1) | instskip(SKIP_3) | instid1(VALU_DEP_1)
	v_dual_add_f32 v40, v40, v45 :: v_dual_add_f32 v35, v35, v42
	v_sub_f32_e32 v42, v22, v6
	v_dual_add_f32 v6, v22, v6 :: v_dual_add_f32 v31, v31, v39
	v_mul_f32_e32 v39, 0x3df6dbef, v21
	v_fmamk_f32 v38, v15, 0xbf7e222b, v39
	s_delay_alu instid0(VALU_DEP_1) | instskip(NEXT) | instid1(VALU_DEP_1)
	v_dual_fmac_f32 v39, 0x3f7e222b, v15 :: v_dual_add_f32 v38, v38, v46
	v_dual_add_f32 v39, v39, v44 :: v_dual_add_f32 v44, v132, v19
	v_sub_f32_e32 v19, v132, v19
	v_add_f32_e32 v33, v33, v37
	v_mul_f32_e32 v37, 0xbf3f9e67, v21
	v_mul_f32_e32 v21, 0x3f62ad3f, v21
	;; [unrolled: 1-line block ×3, first 2 shown]
	s_delay_alu instid0(VALU_DEP_3) | instskip(SKIP_1) | instid1(VALU_DEP_4)
	v_fmamk_f32 v36, v15, 0xbf29c268, v37
	v_fmac_f32_e32 v37, 0x3f29c268, v15
	v_fmamk_f32 v45, v15, 0xbeedf032, v21
	v_fmac_f32_e32 v21, 0x3eedf032, v15
	v_fmamk_f32 v15, v44, 0x3df6dbef, v46
	s_delay_alu instid0(VALU_DEP_4) | instskip(SKIP_1) | instid1(VALU_DEP_4)
	v_add_f32_e32 v37, v37, v41
	v_mul_f32_e32 v41, 0x3eedf032, v48
	v_add_f32_e32 v20, v21, v20
	s_delay_alu instid0(VALU_DEP_2) | instskip(SKIP_2) | instid1(VALU_DEP_1)
	v_dual_add_f32 v36, v36, v43 :: v_dual_fmamk_f32 v43, v50, 0x3f62ad3f, v41
	v_fma_f32 v22, 0x3f62ad3f, v50, -v41
	v_mul_f32_e32 v41, 0x3df6dbef, v6
	v_dual_add_f32 v2, v22, v2 :: v_dual_fmamk_f32 v21, v19, 0x3f7e222b, v41
	v_fma_f32 v22, 0x3df6dbef, v44, -v46
	v_fmac_f32_e32 v41, 0xbf7e222b, v19
	s_delay_alu instid0(VALU_DEP_2) | instskip(NEXT) | instid1(VALU_DEP_2)
	v_dual_mul_f32 v46, 0xbf788fa5, v6 :: v_dual_add_f32 v11, v22, v11
	v_add_f32_e32 v22, v41, v24
	s_delay_alu instid0(VALU_DEP_2) | instskip(SKIP_1) | instid1(VALU_DEP_2)
	v_fmamk_f32 v24, v19, 0x3e750f2a, v46
	v_fmac_f32_e32 v46, 0xbe750f2a, v19
	v_dual_add_f32 v43, v43, v47 :: v_dual_add_f32 v24, v24, v26
	s_delay_alu instid0(VALU_DEP_2) | instskip(NEXT) | instid1(VALU_DEP_1)
	v_dual_mul_f32 v26, 0xbeb58ec6, v6 :: v_dual_add_f32 v7, v46, v7
	v_fmamk_f32 v46, v19, 0xbf6f5d39, v26
	v_add_f32_e32 v3, v15, v3
	v_mul_f32_e32 v15, 0xbe750f2a, v42
	v_dual_fmac_f32 v26, 0x3f6f5d39, v19 :: v_dual_add_f32 v21, v21, v25
	s_delay_alu instid0(VALU_DEP_4) | instskip(NEXT) | instid1(VALU_DEP_3)
	v_dual_add_f32 v31, v46, v31 :: v_dual_mul_f32 v46, 0x3f62ad3f, v6
	v_fmamk_f32 v47, v44, 0xbf788fa5, v15
	v_fma_f32 v15, 0xbf788fa5, v44, -v15
	s_delay_alu instid0(VALU_DEP_4) | instskip(NEXT) | instid1(VALU_DEP_3)
	v_add_f32_e32 v26, v26, v32
	v_dual_mul_f32 v32, 0xbf52af12, v42 :: v_dual_add_f32 v25, v47, v28
	s_delay_alu instid0(VALU_DEP_3) | instskip(SKIP_1) | instid1(VALU_DEP_3)
	v_dual_mul_f32 v28, 0x3f6f5d39, v42 :: v_dual_add_f32 v5, v15, v5
	v_mul_f32_e32 v15, 0x3eedf032, v42
	v_fmamk_f32 v47, v44, 0x3f116cb1, v32
	v_fma_f32 v32, 0x3f116cb1, v44, -v32
	s_delay_alu instid0(VALU_DEP_4) | instskip(SKIP_1) | instid1(VALU_DEP_2)
	v_fmamk_f32 v41, v44, 0xbeb58ec6, v28
	v_fma_f32 v28, 0xbeb58ec6, v44, -v28
	v_dual_add_f32 v32, v32, v35 :: v_dual_add_f32 v33, v41, v33
	v_fmamk_f32 v41, v44, 0x3f62ad3f, v15
	s_delay_alu instid0(VALU_DEP_3) | instskip(SKIP_2) | instid1(VALU_DEP_4)
	v_add_f32_e32 v28, v28, v29
	v_fma_f32 v15, 0x3f62ad3f, v44, -v15
	v_sub_f32_e32 v35, v18, v4
	v_dual_add_f32 v4, v18, v4 :: v_dual_add_f32 v29, v41, v34
	v_fmamk_f32 v34, v19, 0xbeedf032, v46
	v_mul_f32_e32 v41, 0x3f116cb1, v6
	v_fmac_f32_e32 v46, 0x3eedf032, v19
	v_mul_f32_e32 v6, 0xbf3f9e67, v6
	s_delay_alu instid0(VALU_DEP_4) | instskip(NEXT) | instid1(VALU_DEP_3)
	v_add_f32_e32 v34, v34, v36
	v_dual_add_f32 v36, v46, v37 :: v_dual_add_f32 v37, v47, v40
	v_mul_f32_e32 v40, 0xbf29c268, v42
	s_delay_alu instid0(VALU_DEP_4)
	v_fmamk_f32 v42, v19, 0x3f29c268, v6
	v_fmac_f32_e32 v6, 0xbf29c268, v19
	v_add_f32_e32 v15, v15, v27
	v_fmamk_f32 v27, v19, 0x3f52af12, v41
	v_fmac_f32_e32 v41, 0xbf52af12, v19
	v_fma_f32 v18, 0xbf3f9e67, v44, -v40
	s_delay_alu instid0(VALU_DEP_3) | instskip(NEXT) | instid1(VALU_DEP_3)
	v_dual_add_f32 v6, v6, v20 :: v_dual_add_f32 v27, v27, v38
	v_dual_fmamk_f32 v38, v44, 0xbf3f9e67, v40 :: v_dual_add_f32 v39, v41, v39
	v_dual_add_f32 v41, v23, v30 :: v_dual_mul_f32 v40, 0xbf3f9e67, v4
	s_delay_alu instid0(VALU_DEP_2) | instskip(SKIP_4) | instid1(VALU_DEP_4)
	v_dual_sub_f32 v23, v23, v30 :: v_dual_add_f32 v38, v38, v43
	v_mul_f32_e32 v43, 0xbf6f5d39, v35
	v_mul_f32_e32 v30, 0xbeb58ec6, v4
	v_add_f32_e32 v2, v18, v2
	v_mul_f32_e32 v18, 0x3f29c268, v35
	v_fmamk_f32 v19, v41, 0xbeb58ec6, v43
	v_fma_f32 v20, 0xbeb58ec6, v41, -v43
	s_delay_alu instid0(VALU_DEP_3) | instskip(SKIP_1) | instid1(VALU_DEP_4)
	v_fmamk_f32 v43, v41, 0xbf3f9e67, v18
	v_fma_f32 v18, 0xbf3f9e67, v41, -v18
	v_add_f32_e32 v3, v19, v3
	v_fmamk_f32 v19, v23, 0x3f6f5d39, v30
	s_delay_alu instid0(VALU_DEP_3) | instskip(NEXT) | instid1(VALU_DEP_2)
	v_dual_fmac_f32 v30, 0xbf6f5d39, v23 :: v_dual_add_f32 v5, v18, v5
	v_dual_mul_f32 v18, 0xbf7e222b, v35 :: v_dual_add_f32 v19, v19, v21
	v_fmamk_f32 v21, v23, 0xbf29c268, v40
	s_delay_alu instid0(VALU_DEP_1) | instskip(NEXT) | instid1(VALU_DEP_1)
	v_dual_fmac_f32 v40, 0x3f29c268, v23 :: v_dual_add_f32 v21, v21, v24
	v_dual_mul_f32 v24, 0x3f62ad3f, v4 :: v_dual_add_f32 v7, v40, v7
	s_delay_alu instid0(VALU_DEP_1) | instskip(SKIP_3) | instid1(VALU_DEP_4)
	v_dual_fmamk_f32 v40, v23, 0xbeedf032, v24 :: v_dual_add_f32 v11, v20, v11
	v_add_f32_e32 v20, v30, v22
	v_dual_add_f32 v22, v43, v25 :: v_dual_mul_f32 v25, 0x3eedf032, v35
	v_fmac_f32_e32 v24, 0x3eedf032, v23
	v_dual_add_f32 v31, v40, v31 :: v_dual_mul_f32 v40, 0x3df6dbef, v4
	s_delay_alu instid0(VALU_DEP_3) | instskip(SKIP_1) | instid1(VALU_DEP_4)
	v_fmamk_f32 v30, v41, 0x3f62ad3f, v25
	v_fma_f32 v25, 0x3f62ad3f, v41, -v25
	v_add_f32_e32 v24, v24, v26
	s_delay_alu instid0(VALU_DEP_3) | instskip(NEXT) | instid1(VALU_DEP_3)
	v_dual_add_f32 v30, v30, v33 :: v_dual_fmamk_f32 v33, v41, 0x3df6dbef, v18
	v_dual_add_f32 v25, v25, v28 :: v_dual_mul_f32 v28, 0x3e750f2a, v35
	v_fma_f32 v18, 0x3df6dbef, v41, -v18
	s_delay_alu instid0(VALU_DEP_3)
	v_dual_mul_f32 v35, 0x3f52af12, v35 :: v_dual_add_f32 v26, v33, v29
	v_fmamk_f32 v29, v23, 0x3f7e222b, v40
	v_fmac_f32_e32 v40, 0xbf7e222b, v23
	v_mul_f32_e32 v33, 0xbf788fa5, v4
	v_fmamk_f32 v43, v41, 0xbf788fa5, v28
	v_add_f32_e32 v15, v18, v15
	s_delay_alu instid0(VALU_DEP_4) | instskip(NEXT) | instid1(VALU_DEP_4)
	v_dual_add_f32 v29, v29, v34 :: v_dual_add_f32 v34, v40, v36
	v_dual_add_f32 v45, v45, v49 :: v_dual_fmamk_f32 v18, v23, 0xbe750f2a, v33
	v_fma_f32 v28, 0xbf788fa5, v41, -v28
	v_mul_f32_e32 v4, 0x3f116cb1, v4
	v_dual_fmac_f32 v33, 0x3e750f2a, v23 :: v_dual_add_f32 v36, v43, v37
	s_delay_alu instid0(VALU_DEP_4) | instskip(NEXT) | instid1(VALU_DEP_4)
	v_dual_add_f32 v18, v18, v27 :: v_dual_fmamk_f32 v27, v41, 0x3f116cb1, v35
	v_add_f32_e32 v28, v28, v32
	s_delay_alu instid0(VALU_DEP_4) | instskip(NEXT) | instid1(VALU_DEP_4)
	v_dual_sub_f32 v32, v16, v10 :: v_dual_fmamk_f32 v37, v23, 0xbf52af12, v4
	v_add_f32_e32 v33, v33, v39
	s_delay_alu instid0(VALU_DEP_4) | instskip(NEXT) | instid1(VALU_DEP_3)
	v_dual_add_f32 v27, v27, v38 :: v_dual_add_f32 v38, v17, v9
	v_dual_mul_f32 v39, 0xbf29c268, v32 :: v_dual_add_f32 v10, v16, v10
	v_fmac_f32_e32 v4, 0x3f52af12, v23
	v_fma_f32 v16, 0x3f116cb1, v41, -v35
	v_sub_f32_e32 v9, v17, v9
	s_delay_alu instid0(VALU_DEP_4) | instskip(SKIP_3) | instid1(VALU_DEP_4)
	v_fmamk_f32 v23, v38, 0xbf3f9e67, v39
	v_mul_f32_e32 v17, 0xbf3f9e67, v10
	v_add_f32_e32 v4, v4, v6
	v_mul_f32_e32 v6, 0x3f7e222b, v32
	v_dual_add_f32 v2, v16, v2 :: v_dual_add_f32 v3, v23, v3
	s_delay_alu instid0(VALU_DEP_4) | instskip(SKIP_3) | instid1(VALU_DEP_4)
	v_fmamk_f32 v16, v9, 0x3f29c268, v17
	v_fma_f32 v23, 0xbf3f9e67, v38, -v39
	v_fmac_f32_e32 v17, 0xbf29c268, v9
	v_mul_f32_e32 v35, 0x3df6dbef, v10
	v_dual_fmamk_f32 v39, v38, 0x3df6dbef, v6 :: v_dual_add_f32 v16, v16, v19
	v_fma_f32 v6, 0x3df6dbef, v38, -v6
	s_delay_alu instid0(VALU_DEP_4) | instskip(NEXT) | instid1(VALU_DEP_3)
	v_add_f32_e32 v17, v17, v20
	v_dual_fmamk_f32 v19, v9, 0xbf7e222b, v35 :: v_dual_add_f32 v20, v39, v22
	v_mul_f32_e32 v22, 0xbf52af12, v32
	v_fmac_f32_e32 v35, 0x3f7e222b, v9
	v_add_f32_e32 v11, v23, v11
	s_delay_alu instid0(VALU_DEP_4) | instskip(SKIP_4) | instid1(VALU_DEP_4)
	v_add_f32_e32 v19, v19, v21
	v_mul_f32_e32 v21, 0x3f116cb1, v10
	v_fmamk_f32 v23, v38, 0x3f116cb1, v22
	v_dual_add_f32 v5, v6, v5 :: v_dual_add_f32 v6, v35, v7
	v_mul_f32_e32 v7, 0x3e750f2a, v32
	v_fmamk_f32 v35, v9, 0x3f52af12, v21
	s_delay_alu instid0(VALU_DEP_4) | instskip(SKIP_4) | instid1(VALU_DEP_4)
	v_add_f32_e32 v23, v23, v30
	v_fma_f32 v22, 0x3f116cb1, v38, -v22
	v_fmac_f32_e32 v21, 0xbf52af12, v9
	v_fmamk_f32 v30, v38, 0xbf788fa5, v7
	v_fma_f32 v7, 0xbf788fa5, v38, -v7
	v_dual_add_f32 v31, v35, v31 :: v_dual_add_f32 v22, v22, v25
	s_delay_alu instid0(VALU_DEP_3) | instskip(SKIP_1) | instid1(VALU_DEP_4)
	v_dual_add_f32 v21, v21, v24 :: v_dual_add_f32 v24, v30, v26
	v_mul_f32_e32 v25, 0x3eedf032, v32
	v_dual_mul_f32 v30, 0x3f62ad3f, v10 :: v_dual_add_f32 v7, v7, v15
	v_mul_f32_e32 v32, 0xbf6f5d39, v32
	v_mul_f32_e32 v35, 0xbf788fa5, v10
	s_delay_alu instid0(VALU_DEP_4) | instskip(NEXT) | instid1(VALU_DEP_4)
	v_fmamk_f32 v39, v38, 0x3f62ad3f, v25
	v_fmamk_f32 v15, v9, 0xbeedf032, v30
	v_fma_f32 v25, 0x3f62ad3f, v38, -v25
	v_fmac_f32_e32 v30, 0x3eedf032, v9
	v_fmamk_f32 v26, v9, 0xbe750f2a, v35
	v_fmac_f32_e32 v35, 0x3e750f2a, v9
	v_dual_add_f32 v15, v15, v18 :: v_dual_fmamk_f32 v18, v38, 0xbeb58ec6, v32
	v_add_f32_e32 v25, v25, v28
	v_sub_f32_e32 v28, v14, v8
	v_mul_f32_e32 v10, 0xbeb58ec6, v10
	v_add_f32_e32 v30, v30, v33
	v_dual_add_f32 v18, v18, v27 :: v_dual_add_f32 v27, v13, v12
	s_delay_alu instid0(VALU_DEP_4)
	v_mul_f32_e32 v33, 0xbe750f2a, v28
	v_add_f32_e32 v8, v14, v8
	v_dual_add_f32 v26, v26, v29 :: v_dual_add_f32 v29, v35, v34
	v_fmamk_f32 v35, v9, 0x3f6f5d39, v10
	v_fmac_f32_e32 v10, 0xbf6f5d39, v9
	v_dual_fmamk_f32 v9, v27, 0xbf788fa5, v33 :: v_dual_sub_f32 v12, v13, v12
	v_dual_mul_f32 v13, 0xbf788fa5, v8 :: v_dual_add_f32 v42, v42, v45
	v_fma_f32 v14, 0xbeb58ec6, v38, -v32
	s_delay_alu instid0(VALU_DEP_3) | instskip(SKIP_1) | instid1(VALU_DEP_4)
	v_dual_add_f32 v4, v10, v4 :: v_dual_add_f32 v9, v9, v3
	v_mul_f32_e32 v3, 0x3eedf032, v28
	v_dual_fmamk_f32 v10, v12, 0x3e750f2a, v13 :: v_dual_add_f32 v37, v37, v42
	s_delay_alu instid0(VALU_DEP_4)
	v_add_f32_e32 v2, v14, v2
	v_fma_f32 v14, 0xbf788fa5, v27, -v33
	v_fmac_f32_e32 v13, 0xbe750f2a, v12
	v_dual_mul_f32 v32, 0x3f62ad3f, v8 :: v_dual_fmamk_f32 v33, v27, 0x3f62ad3f, v3
	v_add_f32_e32 v10, v10, v16
	v_fma_f32 v3, 0x3f62ad3f, v27, -v3
	v_mul_f32_e32 v16, 0xbf3f9e67, v8
	v_add_f32_e32 v34, v39, v36
	v_dual_add_f32 v35, v35, v37 :: v_dual_add_f32 v36, v14, v11
	v_add_f32_e32 v37, v13, v17
	v_fmamk_f32 v11, v12, 0xbeedf032, v32
	v_add_f32_e32 v13, v33, v20
	v_mul_f32_e32 v14, 0xbf29c268, v28
	v_dual_fmac_f32 v32, 0x3eedf032, v12 :: v_dual_add_f32 v33, v3, v5
	v_fmamk_f32 v5, v12, 0x3f29c268, v16
	v_add_f32_e32 v11, v11, v19
	s_delay_alu instid0(VALU_DEP_3) | instskip(SKIP_1) | instid1(VALU_DEP_4)
	v_dual_mul_f32 v3, 0x3f52af12, v28 :: v_dual_add_f32 v38, v32, v6
	v_fma_f32 v6, 0xbf3f9e67, v27, -v14
	v_dual_fmac_f32 v16, 0xbf29c268, v12 :: v_dual_add_f32 v19, v5, v31
	v_mul_f32_e32 v5, 0x3f116cb1, v8
	v_fmamk_f32 v17, v27, 0xbf3f9e67, v14
	v_fmamk_f32 v14, v27, 0x3f116cb1, v3
	s_delay_alu instid0(VALU_DEP_4)
	v_dual_add_f32 v22, v6, v22 :: v_dual_add_f32 v21, v16, v21
	v_mul_f32_e32 v6, 0xbf6f5d39, v28
	v_fmamk_f32 v16, v12, 0xbf52af12, v5
	v_fma_f32 v3, 0x3f116cb1, v27, -v3
	v_fmac_f32_e32 v5, 0x3f52af12, v12
	v_dual_mul_f32 v20, 0xbeb58ec6, v8 :: v_dual_add_f32 v17, v17, v23
	v_dual_add_f32 v14, v14, v24 :: v_dual_fmamk_f32 v23, v27, 0xbeb58ec6, v6
	v_add_f32_e32 v16, v16, v26
	v_add_f32_e32 v24, v3, v7
	s_delay_alu instid0(VALU_DEP_4) | instskip(SKIP_2) | instid1(VALU_DEP_3)
	v_dual_add_f32 v26, v5, v29 :: v_dual_fmamk_f32 v3, v12, 0x3f6f5d39, v20
	v_fma_f32 v5, 0xbeb58ec6, v27, -v6
	v_dual_mul_f32 v6, 0x3f7e222b, v28 :: v_dual_mul_f32 v7, v63, v79
	v_dual_fmac_f32 v20, 0xbf6f5d39, v12 :: v_dual_add_f32 v15, v3, v15
	v_mul_f32_e32 v3, 0x3df6dbef, v8
	s_delay_alu instid0(VALU_DEP_4) | instskip(NEXT) | instid1(VALU_DEP_4)
	v_add_f32_e32 v25, v5, v25
	v_fmamk_f32 v5, v27, 0x3df6dbef, v6
	v_fma_f32 v6, 0x3df6dbef, v27, -v6
	v_fma_f32 v7, v62, v78, -v7
	v_fmamk_f32 v8, v12, 0xbf7e222b, v3
	s_delay_alu instid0(VALU_DEP_4) | instskip(SKIP_2) | instid1(VALU_DEP_4)
	v_dual_fmac_f32 v3, 0x3f7e222b, v12 :: v_dual_add_f32 v18, v5, v18
	v_mul_f32_e32 v5, v62, v79
	v_add_f32_e32 v28, v6, v2
	v_dual_mul_f32 v2, v75, v77 :: v_dual_add_f32 v27, v8, v35
	v_mul_f32_e32 v6, v7, v71
	s_delay_alu instid0(VALU_DEP_4) | instskip(NEXT) | instid1(VALU_DEP_3)
	v_dual_fmac_f32 v5, v63, v78 :: v_dual_mul_f32 v8, v74, v77
	v_fma_f32 v12, v74, v76, -v2
	v_dual_add_f32 v29, v3, v4 :: v_dual_mul_f32 v4, v81, v83
	s_delay_alu instid0(VALU_DEP_3) | instskip(SKIP_1) | instid1(VALU_DEP_4)
	v_mul_f32_e32 v2, v5, v71
	v_fmac_f32_e32 v6, v70, v5
	v_dual_fmac_f32 v8, v75, v76 :: v_dual_mul_f32 v5, v12, v85
	v_add_f32_e32 v20, v20, v30
	s_delay_alu instid0(VALU_DEP_4) | instskip(NEXT) | instid1(VALU_DEP_4)
	v_fma_f32 v3, v70, v7, -v2
	v_mul_f32_e32 v2, v0, v6
	s_delay_alu instid0(VALU_DEP_4) | instskip(SKIP_3) | instid1(VALU_DEP_4)
	v_mul_f32_e32 v7, v8, v85
	v_dual_fmac_f32 v5, v84, v8 :: v_dual_mul_f32 v6, v1, v6
	v_mul_f32_e32 v8, v80, v83
	v_fma_f32 v30, v80, v82, -v4
	v_fma_f32 v7, v84, v12, -v7
	s_delay_alu instid0(VALU_DEP_4) | instskip(SKIP_1) | instid1(VALU_DEP_4)
	v_mul_f32_e32 v4, v10, v5
	v_fmac_f32_e32 v2, v1, v3
	v_dual_fmac_f32 v8, v81, v82 :: v_dual_mul_f32 v1, v30, v69
	v_fma_f32 v3, v0, v3, -v6
	v_mul_f32_e32 v0, v129, v131
	v_fmac_f32_e32 v4, v9, v7
	s_delay_alu instid0(VALU_DEP_4) | instskip(SKIP_3) | instid1(VALU_DEP_4)
	v_mul_f32_e32 v6, v8, v69
	v_fmac_f32_e32 v1, v68, v8
	v_dual_mul_f32 v5, v9, v5 :: v_dual_mul_f32 v8, v128, v131
	v_fma_f32 v9, v128, v130, -v0
	v_fma_f32 v6, v68, v30, -v6
	s_delay_alu instid0(VALU_DEP_4) | instskip(NEXT) | instid1(VALU_DEP_4)
	v_mul_f32_e32 v0, v11, v1
	v_fma_f32 v5, v10, v7, -v5
	v_fmac_f32_e32 v8, v129, v130
	v_dual_mul_f32 v7, v9, v127 :: v_dual_mul_f32 v10, v123, v125
	v_mul_f32_e32 v1, v13, v1
	v_fmac_f32_e32 v0, v13, v6
	s_delay_alu instid0(VALU_DEP_3) | instskip(SKIP_3) | instid1(VALU_DEP_4)
	v_dual_mul_f32 v12, v8, v127 :: v_dual_fmac_f32 v7, v126, v8
	v_mul_f32_e32 v8, v122, v125
	v_fma_f32 v10, v122, v124, -v10
	v_fma_f32 v1, v11, v6, -v1
	;; [unrolled: 1-line block ×3, first 2 shown]
	v_mul_f32_e32 v11, v119, v121
	v_fmac_f32_e32 v8, v123, v124
	v_mul_f32_e32 v12, v10, v117
	v_dual_mul_f32 v6, v19, v7 :: v_dual_mul_f32 v13, v118, v121
	s_delay_alu instid0(VALU_DEP_4) | instskip(NEXT) | instid1(VALU_DEP_4)
	v_fma_f32 v11, v118, v120, -v11
	v_mul_f32_e32 v30, v8, v117
	s_delay_alu instid0(VALU_DEP_4) | instskip(NEXT) | instid1(VALU_DEP_4)
	v_dual_fmac_f32 v12, v116, v8 :: v_dual_mul_f32 v7, v17, v7
	v_dual_fmac_f32 v6, v17, v9 :: v_dual_fmac_f32 v13, v119, v120
	s_delay_alu instid0(VALU_DEP_4) | instskip(NEXT) | instid1(VALU_DEP_4)
	v_mul_f32_e32 v17, v11, v115
	v_fma_f32 v30, v116, v10, -v30
	s_delay_alu instid0(VALU_DEP_4) | instskip(SKIP_3) | instid1(VALU_DEP_4)
	v_mul_f32_e32 v8, v16, v12
	v_fma_f32 v7, v19, v9, -v7
	v_dual_mul_f32 v9, v14, v12 :: v_dual_mul_f32 v12, v111, v113
	v_dual_mul_f32 v10, v13, v115 :: v_dual_fmac_f32 v17, v114, v13
	v_fmac_f32_e32 v8, v14, v30
	v_mul_f32_e32 v13, v110, v113
	v_mul_f32_e32 v14, v107, v109
	v_fma_f32 v12, v110, v112, -v12
	v_add_f32_e32 v23, v23, v34
	v_fma_f32 v11, v114, v11, -v10
	v_mul_f32_e32 v10, v15, v17
	v_fma_f32 v9, v16, v30, -v9
	v_dual_mul_f32 v16, v106, v109 :: v_dual_fmac_f32 v13, v111, v112
	v_fma_f32 v14, v106, v108, -v14
	s_delay_alu instid0(VALU_DEP_4) | instskip(SKIP_1) | instid1(VALU_DEP_4)
	v_dual_mul_f32 v19, v12, v105 :: v_dual_fmac_f32 v10, v23, v11
	v_mul_f32_e32 v17, v23, v17
	v_dual_fmac_f32 v16, v107, v108 :: v_dual_mul_f32 v23, v13, v105
	s_delay_alu instid0(VALU_DEP_3) | instskip(NEXT) | instid1(VALU_DEP_3)
	v_dual_mul_f32 v30, v14, v103 :: v_dual_fmac_f32 v19, v104, v13
	v_fma_f32 v11, v15, v11, -v17
	s_delay_alu instid0(VALU_DEP_3) | instskip(NEXT) | instid1(VALU_DEP_4)
	v_mul_f32_e32 v13, v16, v103
	v_fma_f32 v15, v104, v12, -v23
	s_delay_alu instid0(VALU_DEP_4)
	v_fmac_f32_e32 v30, v102, v16
	v_mul_f32_e32 v12, v27, v19
	v_dual_mul_f32 v16, v18, v19 :: v_dual_mul_f32 v19, v99, v101
	v_mul_f32_e32 v23, v98, v101
	v_fma_f32 v17, v102, v14, -v13
	v_mul_f32_e32 v14, v29, v30
	v_fmac_f32_e32 v12, v18, v15
	v_fma_f32 v13, v27, v15, -v16
	v_fma_f32 v16, v98, v100, -v19
	v_fmac_f32_e32 v23, v99, v100
	v_dual_mul_f32 v15, v28, v30 :: v_dual_mul_f32 v18, v95, v97
	v_fmac_f32_e32 v14, v28, v17
	s_delay_alu instid0(VALU_DEP_4)
	v_mul_f32_e32 v19, v16, v93
	v_mul_f32_e32 v27, v94, v97
	;; [unrolled: 1-line block ×3, first 2 shown]
	v_fma_f32 v15, v29, v17, -v15
	v_fma_f32 v17, v94, v96, -v18
	v_fmac_f32_e32 v19, v92, v23
	v_fmac_f32_e32 v27, v95, v96
	v_fma_f32 v23, v92, v16, -v28
	v_mul_f32_e32 v18, v87, v91
	v_mul_f32_e32 v28, v17, v89
	s_delay_alu instid0(VALU_DEP_4) | instskip(SKIP_1) | instid1(VALU_DEP_4)
	v_dual_mul_f32 v30, v86, v91 :: v_dual_mul_f32 v29, v27, v89
	v_mul_f32_e32 v16, v20, v19
	v_fma_f32 v31, v86, v90, -v18
	s_delay_alu instid0(VALU_DEP_4) | instskip(NEXT) | instid1(VALU_DEP_4)
	v_fmac_f32_e32 v28, v88, v27
	v_dual_fmac_f32 v30, v87, v90 :: v_dual_mul_f32 v19, v25, v19
	v_fma_f32 v27, v88, v17, -v29
	s_delay_alu instid0(VALU_DEP_3) | instskip(SKIP_1) | instid1(VALU_DEP_4)
	v_dual_mul_f32 v29, v31, v73 :: v_dual_mul_f32 v18, v26, v28
	v_fmac_f32_e32 v16, v25, v23
	v_fma_f32 v17, v20, v23, -v19
	v_mul_f32_e32 v19, v30, v73
	s_delay_alu instid0(VALU_DEP_4)
	v_fmac_f32_e32 v29, v72, v30
	v_fmac_f32_e32 v18, v24, v27
	v_mul_f32_e32 v23, v24, v28
	v_mul_f32_e32 v24, v64, v67
	;; [unrolled: 1-line block ×3, first 2 shown]
	v_fma_f32 v25, v72, v31, -v19
	v_mul_f32_e32 v20, v21, v29
	s_delay_alu instid0(VALU_DEP_4) | instskip(SKIP_2) | instid1(VALU_DEP_4)
	v_dual_mul_f32 v29, v22, v29 :: v_dual_fmac_f32 v24, v65, v66
	v_fma_f32 v19, v26, v27, -v23
	v_fma_f32 v26, v64, v66, -v28
	v_fmac_f32_e32 v20, v22, v25
	s_delay_alu instid0(VALU_DEP_4)
	v_fma_f32 v21, v21, v25, -v29
	v_mul_f32_e32 v25, v24, v57
	v_add_nc_u32_e32 v31, 29, v172
	v_mul_f32_e32 v29, v26, v57
	v_mul_f32_e32 v27, v59, v61
	v_mad_co_u64_u32 v[22:23], null, s4, v173, 0
	v_fma_f32 v34, v56, v26, -v25
	s_delay_alu instid0(VALU_DEP_4) | instskip(SKIP_4) | instid1(VALU_DEP_3)
	v_fmac_f32_e32 v29, v56, v24
	v_mad_co_u64_u32 v[24:25], null, s4, v31, 0
	v_mul_f32_e32 v28, v58, v61
	v_fma_f32 v30, v58, v60, -v27
	v_add_nc_u32_e32 v39, 45, v172
	v_fmac_f32_e32 v28, v59, v60
	s_delay_alu instid0(VALU_DEP_3) | instskip(SKIP_2) | instid1(VALU_DEP_3)
	v_mul_f32_e32 v32, v30, v55
	v_mad_co_u64_u32 v[26:27], null, s5, v173, v[23:24]
	v_mul_f32_e32 v27, v38, v29
	v_dual_mul_f32 v35, v28, v55 :: v_dual_fmac_f32 v32, v54, v28
	v_mul_f32_e32 v28, v33, v29
	s_delay_alu instid0(VALU_DEP_3) | instskip(NEXT) | instid1(VALU_DEP_3)
	v_fmac_f32_e32 v27, v33, v34
	v_fma_f32 v30, v54, v30, -v35
	s_delay_alu instid0(VALU_DEP_4) | instskip(SKIP_4) | instid1(VALU_DEP_3)
	v_mul_f32_e32 v29, v37, v32
	v_mul_f32_e32 v35, v36, v32
	v_mov_b32_e32 v23, v26
	v_mad_co_u64_u32 v[25:26], null, s5, v31, v[25:26]
	v_mad_co_u64_u32 v[31:32], null, s4, v39, 0
	v_lshlrev_b64_e32 v[22:23], 3, v[22:23]
	v_fmac_f32_e32 v29, v36, v30
	v_fma_f32 v30, v37, v30, -v35
	v_add_nc_u32_e32 v35, 61, v172
	v_lshlrev_b64_e32 v[24:25], 3, v[24:25]
	v_fma_f32 v28, v38, v34, -v28
	v_mov_b32_e32 v26, v32
	v_add_co_u32 v22, vcc_lo, v52, v22
	s_wait_alu 0xfffd
	v_add_co_ci_u32_e32 v23, vcc_lo, v53, v23, vcc_lo
	s_delay_alu instid0(VALU_DEP_3)
	v_mad_co_u64_u32 v[32:33], null, s5, v39, v[26:27]
	v_mad_co_u64_u32 v[33:34], null, s4, v35, 0
	v_add_co_u32 v24, vcc_lo, v52, v24
	s_wait_alu 0xfffd
	v_add_co_ci_u32_e32 v25, vcc_lo, v53, v25, vcc_lo
	global_store_b64 v[22:23], v[2:3], off
	v_mov_b32_e32 v2, v34
	global_store_b64 v[24:25], v[4:5], off
	v_lshlrev_b64_e32 v[3:4], 3, v[31:32]
	v_add_nc_u32_e32 v25, 0x4d, v172
	v_add_nc_u32_e32 v31, 0x5d, v172
	s_delay_alu instid0(VALU_DEP_3) | instskip(NEXT) | instid1(VALU_DEP_3)
	v_mad_co_u64_u32 v[22:23], null, s5, v35, v[2:3]
	v_mad_co_u64_u32 v[23:24], null, s4, v25, 0
	v_add_co_u32 v2, vcc_lo, v52, v3
	s_wait_alu 0xfffd
	v_add_co_ci_u32_e32 v3, vcc_lo, v53, v4, vcc_lo
	s_delay_alu instid0(VALU_DEP_4)
	v_mov_b32_e32 v34, v22
	v_mad_co_u64_u32 v[4:5], null, s4, v31, 0
	v_mov_b32_e32 v22, v24
	global_store_b64 v[2:3], v[0:1], off
	v_lshlrev_b64_e32 v[0:1], 3, v[33:34]
	v_add_nc_u32_e32 v33, 0x6d, v172
	v_mad_co_u64_u32 v[2:3], null, s5, v25, v[22:23]
	v_mov_b32_e32 v3, v5
	s_delay_alu instid0(VALU_DEP_3)
	v_mad_co_u64_u32 v[25:26], null, s4, v33, 0
	v_add_nc_u32_e32 v22, 0x7d, v172
	v_add_co_u32 v0, vcc_lo, v52, v0
	v_mov_b32_e32 v24, v2
	v_mad_co_u64_u32 v[2:3], null, s5, v31, v[3:4]
	s_wait_alu 0xfffd
	v_add_co_ci_u32_e32 v1, vcc_lo, v53, v1, vcc_lo
	v_mov_b32_e32 v3, v26
	v_mad_co_u64_u32 v[31:32], null, s4, v22, 0
	global_store_b64 v[0:1], v[6:7], off
	v_mov_b32_e32 v5, v2
	v_mad_co_u64_u32 v[6:7], null, s5, v33, v[3:4]
	v_lshlrev_b64_e32 v[0:1], 3, v[23:24]
	s_delay_alu instid0(VALU_DEP_3) | instskip(SKIP_1) | instid1(VALU_DEP_3)
	v_lshlrev_b64_e32 v[3:4], 3, v[4:5]
	v_mov_b32_e32 v2, v32
	v_add_co_u32 v0, vcc_lo, v52, v0
	v_mov_b32_e32 v26, v6
	s_delay_alu instid0(VALU_DEP_3)
	v_mad_co_u64_u32 v[5:6], null, s5, v22, v[2:3]
	s_wait_alu 0xfffd
	v_add_co_ci_u32_e32 v1, vcc_lo, v53, v1, vcc_lo
	v_add_co_u32 v2, vcc_lo, v52, v3
	s_wait_alu 0xfffd
	v_add_co_ci_u32_e32 v3, vcc_lo, v53, v4, vcc_lo
	global_store_b64 v[0:1], v[8:9], off
	v_add_nc_u32_e32 v8, 0x8d, v172
	v_lshlrev_b64_e32 v[0:1], 3, v[25:26]
	v_mov_b32_e32 v32, v5
	s_delay_alu instid0(VALU_DEP_3) | instskip(NEXT) | instid1(VALU_DEP_3)
	v_mad_co_u64_u32 v[4:5], null, s4, v8, 0
	v_add_co_u32 v0, vcc_lo, v52, v0
	s_delay_alu instid0(VALU_DEP_3)
	v_lshlrev_b64_e32 v[6:7], 3, v[31:32]
	s_wait_alu 0xfffd
	v_add_co_ci_u32_e32 v1, vcc_lo, v53, v1, vcc_lo
	s_clause 0x1
	global_store_b64 v[2:3], v[10:11], off
	global_store_b64 v[0:1], v[12:13], off
	v_mov_b32_e32 v0, v5
	v_add_co_u32 v1, vcc_lo, v52, v6
	v_add_nc_u32_e32 v10, 0x9d, v172
	s_wait_alu 0xfffd
	v_add_co_ci_u32_e32 v2, vcc_lo, v53, v7, vcc_lo
	s_delay_alu instid0(VALU_DEP_3) | instskip(NEXT) | instid1(VALU_DEP_3)
	v_mad_co_u64_u32 v[5:6], null, s5, v8, v[0:1]
	v_mad_co_u64_u32 v[6:7], null, s4, v10, 0
	v_add_nc_u32_e32 v12, 0xad, v172
	global_store_b64 v[1:2], v[14:15], off
	v_add_nc_u32_e32 v13, 0xbd, v172
	v_lshlrev_b64_e32 v[3:4], 3, v[4:5]
	v_mad_co_u64_u32 v[0:1], null, s4, v12, 0
	v_mov_b32_e32 v2, v7
	s_delay_alu instid0(VALU_DEP_4) | instskip(SKIP_1) | instid1(VALU_DEP_3)
	v_mad_co_u64_u32 v[8:9], null, s4, v13, 0
	v_add_nc_u32_e32 v5, 0xcd, v172
	v_mad_co_u64_u32 v[10:11], null, s5, v10, v[2:3]
	v_mad_co_u64_u32 v[1:2], null, s5, v12, v[1:2]
	s_delay_alu instid0(VALU_DEP_3)
	v_mad_co_u64_u32 v[11:12], null, s4, v5, 0
	v_add_co_u32 v3, vcc_lo, v52, v3
	v_mov_b32_e32 v2, v9
	s_wait_alu 0xfffd
	v_add_co_ci_u32_e32 v4, vcc_lo, v53, v4, vcc_lo
	v_mov_b32_e32 v7, v10
	v_lshlrev_b64_e32 v[0:1], 3, v[0:1]
	v_mad_co_u64_u32 v[9:10], null, s5, v13, v[2:3]
	global_store_b64 v[3:4], v[16:17], off
	v_lshlrev_b64_e32 v[3:4], 3, v[6:7]
	v_mov_b32_e32 v2, v12
	s_delay_alu instid0(VALU_DEP_1)
	v_mad_co_u64_u32 v[5:6], null, s5, v5, v[2:3]
	v_add_co_u32 v2, vcc_lo, v52, v3
	v_lshlrev_b64_e32 v[6:7], 3, v[8:9]
	s_wait_alu 0xfffd
	v_add_co_ci_u32_e32 v3, vcc_lo, v53, v4, vcc_lo
	v_add_co_u32 v0, vcc_lo, v52, v0
	v_mov_b32_e32 v12, v5
	s_wait_alu 0xfffd
	v_add_co_ci_u32_e32 v1, vcc_lo, v53, v1, vcc_lo
	v_add_co_u32 v6, vcc_lo, v52, v6
	s_delay_alu instid0(VALU_DEP_3) | instskip(SKIP_2) | instid1(VALU_DEP_2)
	v_lshlrev_b64_e32 v[4:5], 3, v[11:12]
	s_wait_alu 0xfffd
	v_add_co_ci_u32_e32 v7, vcc_lo, v53, v7, vcc_lo
	v_add_co_u32 v4, vcc_lo, v52, v4
	s_wait_alu 0xfffd
	s_delay_alu instid0(VALU_DEP_3)
	v_add_co_ci_u32_e32 v5, vcc_lo, v53, v5, vcc_lo
	s_clause 0x3
	global_store_b64 v[2:3], v[18:19], off
	global_store_b64 v[0:1], v[20:21], off
	;; [unrolled: 1-line block ×4, first 2 shown]
	s_nop 0
	s_sendmsg sendmsg(MSG_DEALLOC_VGPRS)
	s_endpgm
	.section	.rodata,"a",@progbits
	.p2align	6, 0x0
	.amdhsa_kernel fft_rtc_back_len208_factors_2_2_4_13_wgs_247_tpt_13_dim3_sp_ip_CI_sbcc_twdbase8_3step_dirReg
		.amdhsa_group_segment_fixed_size 0
		.amdhsa_private_segment_fixed_size 0
		.amdhsa_kernarg_size 88
		.amdhsa_user_sgpr_count 2
		.amdhsa_user_sgpr_dispatch_ptr 0
		.amdhsa_user_sgpr_queue_ptr 0
		.amdhsa_user_sgpr_kernarg_segment_ptr 1
		.amdhsa_user_sgpr_dispatch_id 0
		.amdhsa_user_sgpr_private_segment_size 0
		.amdhsa_wavefront_size32 1
		.amdhsa_uses_dynamic_stack 0
		.amdhsa_enable_private_segment 0
		.amdhsa_system_sgpr_workgroup_id_x 1
		.amdhsa_system_sgpr_workgroup_id_y 0
		.amdhsa_system_sgpr_workgroup_id_z 0
		.amdhsa_system_sgpr_workgroup_info 0
		.amdhsa_system_vgpr_workitem_id 0
		.amdhsa_next_free_vgpr 215
		.amdhsa_next_free_sgpr 25
		.amdhsa_reserve_vcc 1
		.amdhsa_float_round_mode_32 0
		.amdhsa_float_round_mode_16_64 0
		.amdhsa_float_denorm_mode_32 3
		.amdhsa_float_denorm_mode_16_64 3
		.amdhsa_fp16_overflow 0
		.amdhsa_workgroup_processor_mode 1
		.amdhsa_memory_ordered 1
		.amdhsa_forward_progress 0
		.amdhsa_round_robin_scheduling 0
		.amdhsa_exception_fp_ieee_invalid_op 0
		.amdhsa_exception_fp_denorm_src 0
		.amdhsa_exception_fp_ieee_div_zero 0
		.amdhsa_exception_fp_ieee_overflow 0
		.amdhsa_exception_fp_ieee_underflow 0
		.amdhsa_exception_fp_ieee_inexact 0
		.amdhsa_exception_int_div_zero 0
	.end_amdhsa_kernel
	.text
.Lfunc_end0:
	.size	fft_rtc_back_len208_factors_2_2_4_13_wgs_247_tpt_13_dim3_sp_ip_CI_sbcc_twdbase8_3step_dirReg, .Lfunc_end0-fft_rtc_back_len208_factors_2_2_4_13_wgs_247_tpt_13_dim3_sp_ip_CI_sbcc_twdbase8_3step_dirReg
                                        ; -- End function
	.section	.AMDGPU.csdata,"",@progbits
; Kernel info:
; codeLenInByte = 19464
; NumSgprs: 27
; NumVgprs: 215
; ScratchSize: 0
; MemoryBound: 0
; FloatMode: 240
; IeeeMode: 1
; LDSByteSize: 0 bytes/workgroup (compile time only)
; SGPRBlocks: 3
; VGPRBlocks: 26
; NumSGPRsForWavesPerEU: 27
; NumVGPRsForWavesPerEU: 215
; Occupancy: 7
; WaveLimiterHint : 1
; COMPUTE_PGM_RSRC2:SCRATCH_EN: 0
; COMPUTE_PGM_RSRC2:USER_SGPR: 2
; COMPUTE_PGM_RSRC2:TRAP_HANDLER: 0
; COMPUTE_PGM_RSRC2:TGID_X_EN: 1
; COMPUTE_PGM_RSRC2:TGID_Y_EN: 0
; COMPUTE_PGM_RSRC2:TGID_Z_EN: 0
; COMPUTE_PGM_RSRC2:TIDIG_COMP_CNT: 0
	.text
	.p2alignl 7, 3214868480
	.fill 96, 4, 3214868480
	.type	__hip_cuid_b915fa31f49c047a,@object ; @__hip_cuid_b915fa31f49c047a
	.section	.bss,"aw",@nobits
	.globl	__hip_cuid_b915fa31f49c047a
__hip_cuid_b915fa31f49c047a:
	.byte	0                               ; 0x0
	.size	__hip_cuid_b915fa31f49c047a, 1

	.ident	"AMD clang version 19.0.0git (https://github.com/RadeonOpenCompute/llvm-project roc-6.4.0 25133 c7fe45cf4b819c5991fe208aaa96edf142730f1d)"
	.section	".note.GNU-stack","",@progbits
	.addrsig
	.addrsig_sym __hip_cuid_b915fa31f49c047a
	.amdgpu_metadata
---
amdhsa.kernels:
  - .args:
      - .actual_access:  read_only
        .address_space:  global
        .offset:         0
        .size:           8
        .value_kind:     global_buffer
      - .address_space:  global
        .offset:         8
        .size:           8
        .value_kind:     global_buffer
      - .actual_access:  read_only
        .address_space:  global
        .offset:         16
        .size:           8
        .value_kind:     global_buffer
      - .actual_access:  read_only
        .address_space:  global
        .offset:         24
        .size:           8
        .value_kind:     global_buffer
      - .offset:         32
        .size:           8
        .value_kind:     by_value
      - .actual_access:  read_only
        .address_space:  global
        .offset:         40
        .size:           8
        .value_kind:     global_buffer
      - .actual_access:  read_only
        .address_space:  global
        .offset:         48
        .size:           8
        .value_kind:     global_buffer
      - .offset:         56
        .size:           4
        .value_kind:     by_value
      - .actual_access:  read_only
        .address_space:  global
        .offset:         64
        .size:           8
        .value_kind:     global_buffer
      - .actual_access:  read_only
        .address_space:  global
        .offset:         72
        .size:           8
        .value_kind:     global_buffer
      - .address_space:  global
        .offset:         80
        .size:           8
        .value_kind:     global_buffer
    .group_segment_fixed_size: 0
    .kernarg_segment_align: 8
    .kernarg_segment_size: 88
    .language:       OpenCL C
    .language_version:
      - 2
      - 0
    .max_flat_workgroup_size: 247
    .name:           fft_rtc_back_len208_factors_2_2_4_13_wgs_247_tpt_13_dim3_sp_ip_CI_sbcc_twdbase8_3step_dirReg
    .private_segment_fixed_size: 0
    .sgpr_count:     27
    .sgpr_spill_count: 0
    .symbol:         fft_rtc_back_len208_factors_2_2_4_13_wgs_247_tpt_13_dim3_sp_ip_CI_sbcc_twdbase8_3step_dirReg.kd
    .uniform_work_group_size: 1
    .uses_dynamic_stack: false
    .vgpr_count:     215
    .vgpr_spill_count: 0
    .wavefront_size: 32
    .workgroup_processor_mode: 1
amdhsa.target:   amdgcn-amd-amdhsa--gfx1201
amdhsa.version:
  - 1
  - 2
...

	.end_amdgpu_metadata
